;; amdgpu-corpus repo=ROCm/rocFFT kind=compiled arch=gfx1201 opt=O3
	.text
	.amdgcn_target "amdgcn-amd-amdhsa--gfx1201"
	.amdhsa_code_object_version 6
	.protected	fft_rtc_back_len1092_factors_2_2_13_7_3_wgs_52_tpt_52_halfLds_dp_op_CI_CI_sbrr_dirReg ; -- Begin function fft_rtc_back_len1092_factors_2_2_13_7_3_wgs_52_tpt_52_halfLds_dp_op_CI_CI_sbrr_dirReg
	.globl	fft_rtc_back_len1092_factors_2_2_13_7_3_wgs_52_tpt_52_halfLds_dp_op_CI_CI_sbrr_dirReg
	.p2align	8
	.type	fft_rtc_back_len1092_factors_2_2_13_7_3_wgs_52_tpt_52_halfLds_dp_op_CI_CI_sbrr_dirReg,@function
fft_rtc_back_len1092_factors_2_2_13_7_3_wgs_52_tpt_52_halfLds_dp_op_CI_CI_sbrr_dirReg: ; @fft_rtc_back_len1092_factors_2_2_13_7_3_wgs_52_tpt_52_halfLds_dp_op_CI_CI_sbrr_dirReg
; %bb.0:
	s_clause 0x2
	s_load_b128 s[12:15], s[0:1], 0x18
	s_load_b128 s[8:11], s[0:1], 0x0
	;; [unrolled: 1-line block ×3, first 2 shown]
	v_mul_u32_u24_e32 v1, 0x4ed, v0
	v_mov_b32_e32 v4, 0
	v_mov_b32_e32 v5, 0
	s_wait_kmcnt 0x0
	s_load_b64 s[18:19], s[12:13], 0x0
	s_load_b64 s[16:17], s[14:15], 0x0
	v_lshrrev_b32_e32 v2, 16, v1
	v_mov_b32_e32 v1, 0
	v_cmp_lt_u64_e64 s2, s[10:11], 2
	s_delay_alu instid0(VALU_DEP_2) | instskip(NEXT) | instid1(VALU_DEP_2)
	v_dual_mov_b32 v7, v1 :: v_dual_add_nc_u32 v6, ttmp9, v2
	s_and_b32 vcc_lo, exec_lo, s2
	s_cbranch_vccnz .LBB0_8
; %bb.1:
	s_load_b64 s[2:3], s[0:1], 0x10
	v_mov_b32_e32 v4, 0
	v_mov_b32_e32 v5, 0
	s_add_nc_u64 s[20:21], s[14:15], 8
	s_add_nc_u64 s[22:23], s[12:13], 8
	s_mov_b64 s[24:25], 1
	s_delay_alu instid0(VALU_DEP_1)
	v_dual_mov_b32 v145, v5 :: v_dual_mov_b32 v144, v4
	s_wait_kmcnt 0x0
	s_add_nc_u64 s[26:27], s[2:3], 8
	s_mov_b32 s3, 0
.LBB0_2:                                ; =>This Inner Loop Header: Depth=1
	s_load_b64 s[28:29], s[26:27], 0x0
                                        ; implicit-def: $vgpr146_vgpr147
	s_mov_b32 s2, exec_lo
	s_wait_kmcnt 0x0
	v_or_b32_e32 v2, s29, v7
	s_delay_alu instid0(VALU_DEP_1)
	v_cmpx_ne_u64_e32 0, v[1:2]
	s_wait_alu 0xfffe
	s_xor_b32 s30, exec_lo, s2
	s_cbranch_execz .LBB0_4
; %bb.3:                                ;   in Loop: Header=BB0_2 Depth=1
	s_cvt_f32_u32 s2, s28
	s_cvt_f32_u32 s31, s29
	s_sub_nc_u64 s[36:37], 0, s[28:29]
	s_wait_alu 0xfffe
	s_delay_alu instid0(SALU_CYCLE_1) | instskip(SKIP_1) | instid1(SALU_CYCLE_2)
	s_fmamk_f32 s2, s31, 0x4f800000, s2
	s_wait_alu 0xfffe
	v_s_rcp_f32 s2, s2
	s_delay_alu instid0(TRANS32_DEP_1) | instskip(SKIP_1) | instid1(SALU_CYCLE_2)
	s_mul_f32 s2, s2, 0x5f7ffffc
	s_wait_alu 0xfffe
	s_mul_f32 s31, s2, 0x2f800000
	s_wait_alu 0xfffe
	s_delay_alu instid0(SALU_CYCLE_2) | instskip(SKIP_1) | instid1(SALU_CYCLE_2)
	s_trunc_f32 s31, s31
	s_wait_alu 0xfffe
	s_fmamk_f32 s2, s31, 0xcf800000, s2
	s_cvt_u32_f32 s35, s31
	s_wait_alu 0xfffe
	s_delay_alu instid0(SALU_CYCLE_1) | instskip(SKIP_1) | instid1(SALU_CYCLE_2)
	s_cvt_u32_f32 s34, s2
	s_wait_alu 0xfffe
	s_mul_u64 s[38:39], s[36:37], s[34:35]
	s_wait_alu 0xfffe
	s_mul_hi_u32 s41, s34, s39
	s_mul_i32 s40, s34, s39
	s_mul_hi_u32 s2, s34, s38
	s_mul_i32 s33, s35, s38
	s_wait_alu 0xfffe
	s_add_nc_u64 s[40:41], s[2:3], s[40:41]
	s_mul_hi_u32 s31, s35, s38
	s_mul_hi_u32 s42, s35, s39
	s_add_co_u32 s2, s40, s33
	s_wait_alu 0xfffe
	s_add_co_ci_u32 s2, s41, s31
	s_mul_i32 s38, s35, s39
	s_add_co_ci_u32 s39, s42, 0
	s_wait_alu 0xfffe
	s_add_nc_u64 s[38:39], s[2:3], s[38:39]
	s_wait_alu 0xfffe
	v_add_co_u32 v2, s2, s34, s38
	s_delay_alu instid0(VALU_DEP_1) | instskip(SKIP_1) | instid1(VALU_DEP_1)
	s_cmp_lg_u32 s2, 0
	s_add_co_ci_u32 s35, s35, s39
	v_readfirstlane_b32 s34, v2
	s_wait_alu 0xfffe
	s_delay_alu instid0(VALU_DEP_1)
	s_mul_u64 s[36:37], s[36:37], s[34:35]
	s_wait_alu 0xfffe
	s_mul_hi_u32 s39, s34, s37
	s_mul_i32 s38, s34, s37
	s_mul_hi_u32 s2, s34, s36
	s_mul_i32 s33, s35, s36
	s_wait_alu 0xfffe
	s_add_nc_u64 s[38:39], s[2:3], s[38:39]
	s_mul_hi_u32 s31, s35, s36
	s_mul_hi_u32 s34, s35, s37
	s_wait_alu 0xfffe
	s_add_co_u32 s2, s38, s33
	s_add_co_ci_u32 s2, s39, s31
	s_mul_i32 s36, s35, s37
	s_add_co_ci_u32 s37, s34, 0
	s_wait_alu 0xfffe
	s_add_nc_u64 s[36:37], s[2:3], s[36:37]
	s_wait_alu 0xfffe
	v_add_co_u32 v8, s2, v2, s36
	s_delay_alu instid0(VALU_DEP_1) | instskip(SKIP_1) | instid1(VALU_DEP_1)
	s_cmp_lg_u32 s2, 0
	s_add_co_ci_u32 s2, s35, s37
	v_mul_hi_u32 v12, v6, v8
	s_wait_alu 0xfffe
	v_mad_co_u64_u32 v[2:3], null, v6, s2, 0
	v_mad_co_u64_u32 v[8:9], null, v7, v8, 0
	;; [unrolled: 1-line block ×3, first 2 shown]
	s_delay_alu instid0(VALU_DEP_3) | instskip(SKIP_1) | instid1(VALU_DEP_4)
	v_add_co_u32 v2, vcc_lo, v12, v2
	s_wait_alu 0xfffd
	v_add_co_ci_u32_e32 v3, vcc_lo, 0, v3, vcc_lo
	s_delay_alu instid0(VALU_DEP_2) | instskip(SKIP_1) | instid1(VALU_DEP_2)
	v_add_co_u32 v2, vcc_lo, v2, v8
	s_wait_alu 0xfffd
	v_add_co_ci_u32_e32 v2, vcc_lo, v3, v9, vcc_lo
	s_wait_alu 0xfffd
	v_add_co_ci_u32_e32 v3, vcc_lo, 0, v11, vcc_lo
	s_delay_alu instid0(VALU_DEP_2) | instskip(SKIP_1) | instid1(VALU_DEP_2)
	v_add_co_u32 v8, vcc_lo, v2, v10
	s_wait_alu 0xfffd
	v_add_co_ci_u32_e32 v9, vcc_lo, 0, v3, vcc_lo
	s_delay_alu instid0(VALU_DEP_2) | instskip(SKIP_1) | instid1(VALU_DEP_3)
	v_mul_lo_u32 v10, s29, v8
	v_mad_co_u64_u32 v[2:3], null, s28, v8, 0
	v_mul_lo_u32 v11, s28, v9
	s_delay_alu instid0(VALU_DEP_2) | instskip(NEXT) | instid1(VALU_DEP_2)
	v_sub_co_u32 v2, vcc_lo, v6, v2
	v_add3_u32 v3, v3, v11, v10
	s_delay_alu instid0(VALU_DEP_1) | instskip(SKIP_1) | instid1(VALU_DEP_1)
	v_sub_nc_u32_e32 v10, v7, v3
	s_wait_alu 0xfffd
	v_subrev_co_ci_u32_e64 v10, s2, s29, v10, vcc_lo
	v_add_co_u32 v11, s2, v8, 2
	s_wait_alu 0xf1ff
	v_add_co_ci_u32_e64 v12, s2, 0, v9, s2
	v_sub_co_u32 v13, s2, v2, s28
	v_sub_co_ci_u32_e32 v3, vcc_lo, v7, v3, vcc_lo
	s_wait_alu 0xf1ff
	v_subrev_co_ci_u32_e64 v10, s2, 0, v10, s2
	s_delay_alu instid0(VALU_DEP_3) | instskip(NEXT) | instid1(VALU_DEP_3)
	v_cmp_le_u32_e32 vcc_lo, s28, v13
	v_cmp_eq_u32_e64 s2, s29, v3
	s_wait_alu 0xfffd
	v_cndmask_b32_e64 v13, 0, -1, vcc_lo
	v_cmp_le_u32_e32 vcc_lo, s29, v10
	s_wait_alu 0xfffd
	v_cndmask_b32_e64 v14, 0, -1, vcc_lo
	v_cmp_le_u32_e32 vcc_lo, s28, v2
	;; [unrolled: 3-line block ×3, first 2 shown]
	s_wait_alu 0xfffd
	v_cndmask_b32_e64 v15, 0, -1, vcc_lo
	v_cmp_eq_u32_e32 vcc_lo, s29, v10
	s_wait_alu 0xf1ff
	s_delay_alu instid0(VALU_DEP_2)
	v_cndmask_b32_e64 v2, v15, v2, s2
	s_wait_alu 0xfffd
	v_cndmask_b32_e32 v10, v14, v13, vcc_lo
	v_add_co_u32 v13, vcc_lo, v8, 1
	s_wait_alu 0xfffd
	v_add_co_ci_u32_e32 v14, vcc_lo, 0, v9, vcc_lo
	s_delay_alu instid0(VALU_DEP_3) | instskip(SKIP_1) | instid1(VALU_DEP_2)
	v_cmp_ne_u32_e32 vcc_lo, 0, v10
	s_wait_alu 0xfffd
	v_dual_cndmask_b32 v3, v14, v12 :: v_dual_cndmask_b32 v10, v13, v11
	v_cmp_ne_u32_e32 vcc_lo, 0, v2
	s_wait_alu 0xfffd
	s_delay_alu instid0(VALU_DEP_2)
	v_dual_cndmask_b32 v147, v9, v3 :: v_dual_cndmask_b32 v146, v8, v10
.LBB0_4:                                ;   in Loop: Header=BB0_2 Depth=1
	s_wait_alu 0xfffe
	s_and_not1_saveexec_b32 s2, s30
	s_cbranch_execz .LBB0_6
; %bb.5:                                ;   in Loop: Header=BB0_2 Depth=1
	v_cvt_f32_u32_e32 v2, s28
	s_sub_co_i32 s30, 0, s28
	v_mov_b32_e32 v147, v1
	s_delay_alu instid0(VALU_DEP_2) | instskip(NEXT) | instid1(TRANS32_DEP_1)
	v_rcp_iflag_f32_e32 v2, v2
	v_mul_f32_e32 v2, 0x4f7ffffe, v2
	s_delay_alu instid0(VALU_DEP_1) | instskip(SKIP_1) | instid1(VALU_DEP_1)
	v_cvt_u32_f32_e32 v2, v2
	s_wait_alu 0xfffe
	v_mul_lo_u32 v3, s30, v2
	s_delay_alu instid0(VALU_DEP_1) | instskip(NEXT) | instid1(VALU_DEP_1)
	v_mul_hi_u32 v3, v2, v3
	v_add_nc_u32_e32 v2, v2, v3
	s_delay_alu instid0(VALU_DEP_1) | instskip(NEXT) | instid1(VALU_DEP_1)
	v_mul_hi_u32 v2, v6, v2
	v_mul_lo_u32 v3, v2, s28
	v_add_nc_u32_e32 v8, 1, v2
	s_delay_alu instid0(VALU_DEP_2) | instskip(NEXT) | instid1(VALU_DEP_1)
	v_sub_nc_u32_e32 v3, v6, v3
	v_subrev_nc_u32_e32 v9, s28, v3
	v_cmp_le_u32_e32 vcc_lo, s28, v3
	s_wait_alu 0xfffd
	s_delay_alu instid0(VALU_DEP_2) | instskip(NEXT) | instid1(VALU_DEP_1)
	v_dual_cndmask_b32 v3, v3, v9 :: v_dual_cndmask_b32 v2, v2, v8
	v_cmp_le_u32_e32 vcc_lo, s28, v3
	s_delay_alu instid0(VALU_DEP_2) | instskip(SKIP_1) | instid1(VALU_DEP_1)
	v_add_nc_u32_e32 v8, 1, v2
	s_wait_alu 0xfffd
	v_cndmask_b32_e32 v146, v2, v8, vcc_lo
.LBB0_6:                                ;   in Loop: Header=BB0_2 Depth=1
	s_wait_alu 0xfffe
	s_or_b32 exec_lo, exec_lo, s2
	v_mul_lo_u32 v8, v147, s28
	s_delay_alu instid0(VALU_DEP_2)
	v_mul_lo_u32 v9, v146, s29
	s_load_b64 s[30:31], s[22:23], 0x0
	v_mad_co_u64_u32 v[2:3], null, v146, s28, 0
	s_load_b64 s[28:29], s[20:21], 0x0
	s_add_nc_u64 s[24:25], s[24:25], 1
	s_add_nc_u64 s[20:21], s[20:21], 8
	s_wait_alu 0xfffe
	v_cmp_ge_u64_e64 s2, s[24:25], s[10:11]
	s_add_nc_u64 s[22:23], s[22:23], 8
	s_add_nc_u64 s[26:27], s[26:27], 8
	v_add3_u32 v3, v3, v9, v8
	v_sub_co_u32 v2, vcc_lo, v6, v2
	s_wait_alu 0xfffd
	s_delay_alu instid0(VALU_DEP_2) | instskip(SKIP_2) | instid1(VALU_DEP_1)
	v_sub_co_ci_u32_e32 v3, vcc_lo, v7, v3, vcc_lo
	s_and_b32 vcc_lo, exec_lo, s2
	s_wait_kmcnt 0x0
	v_mul_lo_u32 v6, s30, v3
	v_mul_lo_u32 v7, s31, v2
	v_mad_co_u64_u32 v[4:5], null, s30, v2, v[4:5]
	v_mul_lo_u32 v3, s28, v3
	v_mul_lo_u32 v8, s29, v2
	v_mad_co_u64_u32 v[144:145], null, s28, v2, v[144:145]
	s_delay_alu instid0(VALU_DEP_4) | instskip(NEXT) | instid1(VALU_DEP_2)
	v_add3_u32 v5, v7, v5, v6
	v_add3_u32 v145, v8, v145, v3
	s_wait_alu 0xfffe
	s_cbranch_vccnz .LBB0_9
; %bb.7:                                ;   in Loop: Header=BB0_2 Depth=1
	v_dual_mov_b32 v6, v146 :: v_dual_mov_b32 v7, v147
	s_branch .LBB0_2
.LBB0_8:
	v_dual_mov_b32 v145, v5 :: v_dual_mov_b32 v144, v4
	s_delay_alu instid0(VALU_DEP_2)
	v_dual_mov_b32 v147, v7 :: v_dual_mov_b32 v146, v6
.LBB0_9:
	s_load_b64 s[0:1], s[0:1], 0x28
	v_mul_hi_u32 v1, 0x4ec4ec5, v0
	s_lshl_b64 s[10:11], s[10:11], 3
                                        ; implicit-def: $vgpr186
                                        ; implicit-def: $vgpr154
                                        ; implicit-def: $vgpr149
                                        ; implicit-def: $vgpr120
                                        ; implicit-def: $vgpr121
                                        ; implicit-def: $vgpr122
                                        ; implicit-def: $vgpr123
                                        ; implicit-def: $vgpr124
                                        ; implicit-def: $vgpr125
                                        ; implicit-def: $vgpr126
	s_wait_alu 0xfffe
	s_add_nc_u64 s[2:3], s[14:15], s[10:11]
	s_wait_kmcnt 0x0
	v_cmp_gt_u64_e32 vcc_lo, s[0:1], v[146:147]
	v_cmp_le_u64_e64 s0, s[0:1], v[146:147]
	s_delay_alu instid0(VALU_DEP_1)
	s_and_saveexec_b32 s1, s0
	s_wait_alu 0xfffe
	s_xor_b32 s0, exec_lo, s1
; %bb.10:
	v_mul_u32_u24_e32 v1, 52, v1
                                        ; implicit-def: $vgpr4_vgpr5
	s_delay_alu instid0(VALU_DEP_1) | instskip(NEXT) | instid1(VALU_DEP_1)
	v_sub_nc_u32_e32 v186, v0, v1
                                        ; implicit-def: $vgpr1
                                        ; implicit-def: $vgpr0
	v_add_nc_u32_e32 v154, 52, v186
	v_add_nc_u32_e32 v149, 0x68, v186
	v_add_nc_u32_e32 v120, 0x9c, v186
	v_add_nc_u32_e32 v121, 0xd0, v186
	v_add_nc_u32_e32 v122, 0x104, v186
	v_add_nc_u32_e32 v123, 0x138, v186
	v_add_nc_u32_e32 v124, 0x16c, v186
	v_add_nc_u32_e32 v125, 0x1a0, v186
	v_add_nc_u32_e32 v126, 0x1d4, v186
; %bb.11:
	s_wait_alu 0xfffe
	s_or_saveexec_b32 s1, s0
	s_load_b64 s[2:3], s[2:3], 0x0
                                        ; implicit-def: $vgpr92_vgpr93
                                        ; implicit-def: $vgpr88_vgpr89
                                        ; implicit-def: $vgpr80_vgpr81
                                        ; implicit-def: $vgpr72_vgpr73
                                        ; implicit-def: $vgpr76_vgpr77
                                        ; implicit-def: $vgpr64_vgpr65
                                        ; implicit-def: $vgpr84_vgpr85
                                        ; implicit-def: $vgpr68_vgpr69
                                        ; implicit-def: $vgpr50_vgpr51
                                        ; implicit-def: $vgpr46_vgpr47
                                        ; implicit-def: $vgpr54_vgpr55
                                        ; implicit-def: $vgpr42_vgpr43
                                        ; implicit-def: $vgpr38_vgpr39
                                        ; implicit-def: $vgpr34_vgpr35
                                        ; implicit-def: $vgpr30_vgpr31
                                        ; implicit-def: $vgpr22_vgpr23
                                        ; implicit-def: $vgpr26_vgpr27
                                        ; implicit-def: $vgpr14_vgpr15
                                        ; implicit-def: $vgpr10_vgpr11
                                        ; implicit-def: $vgpr2_vgpr3
                                        ; implicit-def: $vgpr18_vgpr19
                                        ; implicit-def: $vgpr6_vgpr7
	s_xor_b32 exec_lo, exec_lo, s1
	s_cbranch_execz .LBB0_15
; %bb.12:
	s_add_nc_u64 s[10:11], s[12:13], s[10:11]
	v_mul_u32_u24_e32 v1, 52, v1
	s_load_b64 s[10:11], s[10:11], 0x0
	v_lshlrev_b64_e32 v[4:5], 4, v[4:5]
                                        ; implicit-def: $vgpr86_vgpr87
                                        ; implicit-def: $vgpr90_vgpr91
	s_delay_alu instid0(VALU_DEP_2) | instskip(NEXT) | instid1(VALU_DEP_1)
	v_sub_nc_u32_e32 v186, v0, v1
	v_add_nc_u32_e32 v14, 0x222, v186
	v_add_nc_u32_e32 v154, 52, v186
	;; [unrolled: 1-line block ×3, first 2 shown]
	v_mad_co_u64_u32 v[0:1], null, s18, v186, 0
	s_delay_alu instid0(VALU_DEP_4) | instskip(NEXT) | instid1(VALU_DEP_4)
	v_mad_co_u64_u32 v[2:3], null, s18, v14, 0
	v_mad_co_u64_u32 v[6:7], null, s18, v154, 0
	s_delay_alu instid0(VALU_DEP_4)
	v_mad_co_u64_u32 v[8:9], null, s18, v16, 0
	s_wait_kmcnt 0x0
	v_mul_lo_u32 v15, s11, v146
	v_mul_lo_u32 v17, s10, v147
	v_mad_co_u64_u32 v[10:11], null, s10, v146, 0
	v_mad_co_u64_u32 v[12:13], null, s19, v186, v[1:2]
	v_mov_b32_e32 v1, v3
	v_mov_b32_e32 v3, v7
	;; [unrolled: 1-line block ×3, first 2 shown]
	v_add_nc_u32_e32 v149, 0x68, v186
	v_add3_u32 v11, v11, v17, v15
	v_mad_co_u64_u32 v[13:14], null, s19, v14, v[1:2]
	v_mad_co_u64_u32 v[14:15], null, s19, v154, v[3:4]
	s_delay_alu instid0(VALU_DEP_3)
	v_lshlrev_b64_e32 v[9:10], 4, v[10:11]
	v_mov_b32_e32 v1, v12
	v_mad_co_u64_u32 v[11:12], null, s19, v16, v[7:8]
	v_add_nc_u32_e32 v16, 0x28a, v186
	v_add_nc_u32_e32 v120, 0x9c, v186
	v_add_co_u32 v9, s0, s4, v9
	s_wait_alu 0xf1ff
	v_add_co_ci_u32_e64 v10, s0, s5, v10, s0
	v_mov_b32_e32 v7, v14
	v_mad_co_u64_u32 v[14:15], null, s18, v16, 0
	v_mov_b32_e32 v3, v13
	v_mad_co_u64_u32 v[12:13], null, s18, v149, 0
	v_lshlrev_b64_e32 v[0:1], 4, v[0:1]
	v_add_co_u32 v56, s0, v9, v4
	v_dual_mov_b32 v9, v11 :: v_dual_add_nc_u32 v26, 0x2be, v186
	s_wait_alu 0xf1ff
	v_add_co_ci_u32_e64 v57, s0, v10, v5, s0
	v_lshlrev_b64_e32 v[2:3], 4, v[2:3]
	v_lshlrev_b64_e32 v[4:5], 4, v[6:7]
	;; [unrolled: 1-line block ×3, first 2 shown]
	v_add_co_u32 v0, s0, v56, v0
	v_mov_b32_e32 v6, v13
	s_wait_alu 0xf1ff
	v_add_co_ci_u32_e64 v1, s0, v57, v1, s0
	v_add_co_u32 v2, s0, v56, v2
	s_wait_alu 0xf1ff
	v_add_co_ci_u32_e64 v3, s0, v57, v3, s0
	v_mad_co_u64_u32 v[9:10], null, s19, v149, v[6:7]
	v_mad_co_u64_u32 v[22:23], null, s18, v120, 0
	v_add_co_u32 v10, s0, v56, v4
	v_mov_b32_e32 v4, v15
	s_wait_alu 0xf1ff
	v_add_co_ci_u32_e64 v11, s0, v57, v5, s0
	v_add_co_u32 v20, s0, v56, v7
	s_wait_alu 0xf1ff
	v_add_co_ci_u32_e64 v21, s0, v57, v8, s0
	v_mad_co_u64_u32 v[15:16], null, s19, v16, v[4:5]
	v_mov_b32_e32 v13, v9
	s_clause 0x3
	global_load_b128 v[4:7], v[0:1], off
	global_load_b128 v[16:19], v[2:3], off
	;; [unrolled: 1-line block ×4, first 2 shown]
	v_mov_b32_e32 v20, v23
	v_mad_co_u64_u32 v[28:29], null, s18, v26, 0
	v_add_nc_u32_e32 v36, 0x2f2, v186
	v_add_nc_u32_e32 v124, 0x16c, v186
	s_delay_alu instid0(VALU_DEP_4) | instskip(SKIP_1) | instid1(VALU_DEP_4)
	v_mad_co_u64_u32 v[20:21], null, s19, v120, v[20:21]
	v_add_nc_u32_e32 v122, 0x104, v186
	v_mad_co_u64_u32 v[32:33], null, s18, v36, 0
	v_mov_b32_e32 v21, v29
	v_add_nc_u32_e32 v121, 0xd0, v186
	v_mad_co_u64_u32 v[58:59], null, s18, v124, 0
	v_mov_b32_e32 v23, v20
	s_delay_alu instid0(VALU_DEP_4)
	v_mad_co_u64_u32 v[20:21], null, s19, v26, v[21:22]
	v_add_nc_u32_e32 v39, 0x326, v186
	v_lshlrev_b64_e32 v[12:13], 4, v[12:13]
	v_lshlrev_b64_e32 v[14:15], 4, v[14:15]
	;; [unrolled: 1-line block ×3, first 2 shown]
	v_mad_co_u64_u32 v[40:41], null, s18, v122, 0
	v_mad_co_u64_u32 v[42:43], null, s18, v39, 0
	v_dual_mov_b32 v29, v20 :: v_dual_mov_b32 v20, v33
	v_mad_co_u64_u32 v[30:31], null, s18, v121, 0
	v_add_co_u32 v12, s0, v56, v12
	s_wait_alu 0xf1ff
	v_add_co_ci_u32_e64 v13, s0, v57, v13, s0
	v_add_co_u32 v24, s0, v56, v14
	s_delay_alu instid0(VALU_DEP_4)
	v_mov_b32_e32 v21, v31
	s_wait_alu 0xf1ff
	v_add_co_ci_u32_e64 v25, s0, v57, v15, s0
	v_lshlrev_b64_e32 v[28:29], 4, v[28:29]
	v_add_nc_u32_e32 v51, 0x38e, v186
	v_mad_co_u64_u32 v[34:35], null, s19, v121, v[21:22]
	v_add_co_u32 v21, s0, v56, v22
	s_wait_alu 0xf1ff
	v_add_co_ci_u32_e64 v22, s0, v57, v23, s0
	v_add_co_u32 v28, s0, v56, v28
	s_delay_alu instid0(VALU_DEP_4)
	v_mov_b32_e32 v31, v34
	v_mad_co_u64_u32 v[33:34], null, s19, v36, v[20:21]
	v_mov_b32_e32 v36, v41
	s_wait_alu 0xf1ff
	v_add_co_ci_u32_e64 v29, s0, v57, v29, s0
	v_lshlrev_b64_e32 v[34:35], 4, v[30:31]
	v_mad_co_u64_u32 v[60:61], null, s18, v51, 0
	v_lshlrev_b64_e32 v[32:33], 4, v[32:33]
	v_mad_co_u64_u32 v[36:37], null, s19, v122, v[36:37]
	s_delay_alu instid0(VALU_DEP_4) | instskip(SKIP_2) | instid1(VALU_DEP_4)
	v_add_co_u32 v34, s0, v56, v34
	s_wait_alu 0xf1ff
	v_add_co_ci_u32_e64 v35, s0, v57, v35, s0
	v_add_co_u32 v37, s0, v56, v32
	v_dual_mov_b32 v32, v43 :: v_dual_add_nc_u32 v123, 0x138, v186
	v_add_nc_u32_e32 v49, 0x35a, v186
	v_dual_mov_b32 v41, v36 :: v_dual_add_nc_u32 v72, 0x3c2, v186
	s_delay_alu instid0(VALU_DEP_3) | instskip(NEXT) | instid1(VALU_DEP_4)
	v_mad_co_u64_u32 v[46:47], null, s19, v39, v[32:33]
	v_mad_co_u64_u32 v[44:45], null, s18, v123, 0
	s_delay_alu instid0(VALU_DEP_4) | instskip(NEXT) | instid1(VALU_DEP_4)
	v_mad_co_u64_u32 v[47:48], null, s18, v49, 0
	v_lshlrev_b64_e32 v[40:41], 4, v[40:41]
	s_delay_alu instid0(VALU_DEP_4)
	v_dual_mov_b32 v43, v46 :: v_dual_add_nc_u32 v126, 0x1d4, v186
	s_wait_alu 0xf1ff
	v_add_co_ci_u32_e64 v38, s0, v57, v33, s0
	v_mad_co_u64_u32 v[45:46], null, s19, v123, v[45:46]
	v_mov_b32_e32 v46, v48
	v_lshlrev_b64_e32 v[42:43], 4, v[42:43]
	v_add_co_u32 v40, s0, v56, v40
	s_wait_alu 0xf1ff
	v_add_co_ci_u32_e64 v41, s0, v57, v41, s0
	v_mad_co_u64_u32 v[48:49], null, s19, v49, v[46:47]
	s_delay_alu instid0(VALU_DEP_4)
	v_add_co_u32 v49, s0, v56, v42
	s_wait_alu 0xf1ff
	v_add_co_ci_u32_e64 v50, s0, v57, v43, s0
	v_lshlrev_b64_e32 v[42:43], 4, v[44:45]
	v_mov_b32_e32 v44, v59
	v_lshlrev_b64_e32 v[45:46], 4, v[47:48]
	v_add_nc_u32_e32 v125, 0x1a0, v186
	v_mad_co_u64_u32 v[69:70], null, s18, v72, 0
	v_add_co_u32 v62, s0, v56, v42
	v_mov_b32_e32 v42, v61
	v_mad_co_u64_u32 v[47:48], null, s19, v124, v[44:45]
	s_wait_alu 0xf1ff
	v_add_co_ci_u32_e64 v63, s0, v57, v43, s0
	v_add_co_u32 v64, s0, v56, v45
	v_mad_co_u64_u32 v[66:67], null, s19, v51, v[42:43]
	v_mad_co_u64_u32 v[67:68], null, s18, v125, 0
	s_wait_alu 0xf1ff
	v_add_co_ci_u32_e64 v65, s0, v57, v46, s0
	s_clause 0x5
	global_load_b128 v[12:15], v[12:13], off
	global_load_b128 v[24:27], v[24:25], off
	;; [unrolled: 1-line block ×6, first 2 shown]
	v_mov_b32_e32 v59, v47
	s_clause 0x3
	global_load_b128 v[40:43], v[40:41], off
	global_load_b128 v[52:55], v[49:50], off
	;; [unrolled: 1-line block ×4, first 2 shown]
	v_mad_co_u64_u32 v[63:64], null, s18, v126, 0
	v_dual_mov_b32 v62, v68 :: v_dual_mov_b32 v65, v70
	v_add_nc_u32_e32 v73, 0x3f6, v186
	v_mov_b32_e32 v61, v66
	v_lshlrev_b64_e32 v[58:59], 4, v[58:59]
	s_mov_b32 s4, exec_lo
	v_mad_co_u64_u32 v[70:71], null, s19, v125, v[62:63]
	v_mad_co_u64_u32 v[65:66], null, s19, v72, v[65:66]
	;; [unrolled: 1-line block ×3, first 2 shown]
	v_mov_b32_e32 v62, v64
	v_add_co_u32 v58, s0, v56, v58
	v_mov_b32_e32 v68, v70
	v_mov_b32_e32 v70, v65
	s_delay_alu instid0(VALU_DEP_4) | instskip(SKIP_1) | instid1(VALU_DEP_4)
	v_mad_co_u64_u32 v[64:65], null, s19, v126, v[62:63]
	v_mov_b32_e32 v62, v72
	v_lshlrev_b64_e32 v[65:66], 4, v[67:68]
	v_lshlrev_b64_e32 v[60:61], 4, v[60:61]
	s_wait_alu 0xf1ff
	v_add_co_ci_u32_e64 v59, s0, v57, v59, s0
	v_mad_co_u64_u32 v[67:68], null, s19, v73, v[62:63]
	v_lshlrev_b64_e32 v[68:69], 4, v[69:70]
	s_delay_alu instid0(VALU_DEP_4)
	v_add_co_u32 v60, s0, v56, v60
	s_wait_alu 0xf1ff
	v_add_co_ci_u32_e64 v61, s0, v57, v61, s0
	v_add_co_u32 v73, s0, v56, v65
	v_mov_b32_e32 v72, v67
	v_lshlrev_b64_e32 v[62:63], 4, v[63:64]
	s_wait_alu 0xf1ff
	v_add_co_ci_u32_e64 v74, s0, v57, v66, s0
	v_add_co_u32 v75, s0, v56, v68
	v_lshlrev_b64_e32 v[64:65], 4, v[71:72]
	s_wait_alu 0xf1ff
	v_add_co_ci_u32_e64 v76, s0, v57, v69, s0
	v_add_co_u32 v70, s0, v56, v62
	s_wait_alu 0xf1ff
	v_add_co_ci_u32_e64 v71, s0, v57, v63, s0
	v_add_co_u32 v78, s0, v56, v64
	s_wait_alu 0xf1ff
	v_add_co_ci_u32_e64 v79, s0, v57, v65, s0
	s_clause 0x5
	global_load_b128 v[66:69], v[58:59], off
	global_load_b128 v[82:85], v[60:61], off
	;; [unrolled: 1-line block ×6, first 2 shown]
	v_cmpx_gt_u32_e32 26, v186
	s_cbranch_execz .LBB0_14
; %bb.13:
	v_add_nc_u32_e32 v86, 0x208, v186
	v_add_nc_u32_e32 v88, 0x42a, v186
	s_delay_alu instid0(VALU_DEP_2) | instskip(NEXT) | instid1(VALU_DEP_2)
	v_mad_co_u64_u32 v[58:59], null, s18, v86, 0
	v_mad_co_u64_u32 v[60:61], null, s18, v88, 0
	s_delay_alu instid0(VALU_DEP_1) | instskip(NEXT) | instid1(VALU_DEP_1)
	v_mad_co_u64_u32 v[86:87], null, s19, v86, v[59:60]
	v_mov_b32_e32 v59, v86
	s_wait_loadcnt 0x3
	s_delay_alu instid0(VALU_DEP_3) | instskip(NEXT) | instid1(VALU_DEP_2)
	v_mad_co_u64_u32 v[87:88], null, s19, v88, v[61:62]
	v_lshlrev_b64_e32 v[58:59], 4, v[58:59]
	s_delay_alu instid0(VALU_DEP_2) | instskip(NEXT) | instid1(VALU_DEP_2)
	v_mov_b32_e32 v61, v87
	v_add_co_u32 v58, s0, v56, v58
	s_wait_alu 0xf1ff
	s_delay_alu instid0(VALU_DEP_3) | instskip(NEXT) | instid1(VALU_DEP_3)
	v_add_co_ci_u32_e64 v59, s0, v57, v59, s0
	v_lshlrev_b64_e32 v[60:61], 4, v[60:61]
	s_delay_alu instid0(VALU_DEP_1) | instskip(SKIP_1) | instid1(VALU_DEP_2)
	v_add_co_u32 v56, s0, v56, v60
	s_wait_alu 0xf1ff
	v_add_co_ci_u32_e64 v57, s0, v57, v61, s0
	s_clause 0x1
	global_load_b128 v[86:89], v[58:59], off
	global_load_b128 v[90:93], v[56:57], off
.LBB0_14:
	s_wait_alu 0xfffe
	s_or_b32 exec_lo, exec_lo, s4
.LBB0_15:
	s_delay_alu instid0(SALU_CYCLE_1)
	s_or_b32 exec_lo, exec_lo, s1
	s_wait_loadcnt 0x12
	v_add_f64_e64 v[96:97], v[4:5], -v[16:17]
	s_wait_loadcnt 0x0
	v_add_f64_e64 v[60:61], v[86:87], -v[90:91]
	v_add_f64_e64 v[100:101], v[0:1], -v[8:9]
	;; [unrolled: 1-line block ×10, first 2 shown]
	v_lshl_add_u32 v37, v120, 4, 0
	v_lshl_add_u32 v36, v121, 4, 0
	v_lshl_add_u32 v53, v125, 4, 0
	v_lshl_add_u32 v52, v126, 4, 0
	v_cmp_gt_u32_e64 s1, 26, v186
	v_fma_f64 v[94:95], v[4:5], 2.0, -v[96:97]
	v_fma_f64 v[58:59], v[86:87], 2.0, -v[60:61]
	;; [unrolled: 1-line block ×11, first 2 shown]
	v_add_nc_u32_e32 v66, 0x208, v186
	v_lshl_add_u32 v33, v186, 4, 0
	v_lshl_add_u32 v1, v154, 4, 0
	v_lshl_add_u32 v32, v149, 4, 0
	v_lshl_add_u32 v40, v122, 4, 0
	v_lshl_add_u32 v41, v123, 4, 0
	v_lshl_add_u32 v67, v124, 4, 0
	v_lshl_add_u32 v0, v66, 4, 0
	ds_store_b128 v33, v[94:97]
	ds_store_b128 v1, v[98:101]
	;; [unrolled: 1-line block ×10, first 2 shown]
	s_and_saveexec_b32 s0, s1
	s_cbranch_execz .LBB0_17
; %bb.16:
	ds_store_b128 v0, v[58:61]
.LBB0_17:
	s_wait_alu 0xfffe
	s_or_b32 exec_lo, exec_lo, s0
	v_lshl_add_u32 v187, v186, 3, 0
	v_lshlrev_b32_e32 v74, 3, v121
	v_lshlrev_b32_e32 v75, 3, v122
	;; [unrolled: 1-line block ×7, first 2 shown]
	v_add_nc_u32_e32 v4, 0x1000, v187
	v_add_nc_u32_e32 v20, 0x1400, v187
	v_sub_nc_u32_e32 v21, v36, v74
	v_add_nc_u32_e32 v48, 0x1800, v187
	v_lshlrev_b32_e32 v82, 3, v125
	v_lshl_add_u32 v188, v154, 3, 0
	v_sub_nc_u32_e32 v24, v40, v75
	v_sub_nc_u32_e32 v12, v32, v70
	v_sub_nc_u32_e32 v28, v41, v78
	v_sub_nc_u32_e32 v16, v37, v71
	v_sub_nc_u32_e32 v44, v67, v79
	v_sub_nc_u32_e32 v62, v52, v83
	global_wb scope:SCOPE_SE
	s_wait_dscnt 0x0
	s_wait_kmcnt 0x0
	s_barrier_signal -1
	s_barrier_wait -1
	global_inv scope:SCOPE_SE
	ds_load_2addr_b64 v[98:101], v4 offset0:34 offset1:86
	ds_load_2addr_b64 v[94:97], v4 offset0:138 offset1:190
	ds_load_b64 v[4:5], v187
	ds_load_b64 v[8:9], v188
	;; [unrolled: 1-line block ×4, first 2 shown]
	ds_load_2addr_b64 v[102:105], v20 offset0:114 offset1:166
	ds_load_2addr_b64 v[106:109], v48 offset0:90 offset1:142
	v_sub_nc_u32_e32 v49, v53, v82
	ds_load_b64 v[20:21], v21
	ds_load_b64 v[24:25], v24
	;; [unrolled: 1-line block ×4, first 2 shown]
	ds_load_2addr_b64 v[110:113], v48 offset0:194 offset1:246
	ds_load_b64 v[56:57], v49
	ds_load_b64 v[62:63], v62
	s_and_saveexec_b32 s0, s1
	s_cbranch_execz .LBB0_19
; %bb.18:
	ds_load_b64 v[58:59], v187 offset:4160
	ds_load_b64 v[60:61], v187 offset:8528
.LBB0_19:
	s_wait_alu 0xfffe
	s_or_b32 exec_lo, exec_lo, s0
	v_add_f64_e64 v[86:87], v[6:7], -v[18:19]
	v_add_f64_e64 v[152:153], v[46:47], -v[50:51]
	;; [unrolled: 1-line block ×11, first 2 shown]
	v_sub_nc_u32_e32 v19, 0, v70
	v_sub_nc_u32_e32 v18, 0, v71
	;; [unrolled: 1-line block ×4, first 2 shown]
	global_wb scope:SCOPE_SE
	s_wait_dscnt 0x0
	s_barrier_signal -1
	s_barrier_wait -1
	global_inv scope:SCOPE_SE
	v_fma_f64 v[84:85], v[6:7], 2.0, -v[86:87]
	v_fma_f64 v[150:151], v[46:47], 2.0, -v[152:153]
	;; [unrolled: 1-line block ×11, first 2 shown]
	v_sub_nc_u32_e32 v15, 0, v74
	v_sub_nc_u32_e32 v14, 0, v78
	;; [unrolled: 1-line block ×4, first 2 shown]
	ds_store_b128 v33, v[84:87]
	ds_store_b128 v1, v[114:117]
	;; [unrolled: 1-line block ×10, first 2 shown]
	s_and_saveexec_b32 s0, s1
	s_cbranch_execz .LBB0_21
; %bb.20:
	ds_store_b128 v0, v[48:51]
.LBB0_21:
	s_wait_alu 0xfffe
	s_or_b32 exec_lo, exec_lo, s0
	v_add_nc_u32_e32 v22, 0x1000, v187
	v_add_nc_u32_e32 v15, v36, v15
	;; [unrolled: 1-line block ×9, first 2 shown]
	global_wb scope:SCOPE_SE
	s_wait_dscnt 0x0
	s_barrier_signal -1
	s_barrier_wait -1
	global_inv scope:SCOPE_SE
	ds_load_2addr_b64 v[0:3], v22 offset0:34 offset1:86
	ds_load_2addr_b64 v[32:35], v22 offset0:138 offset1:190
	ds_load_b64 v[80:81], v187
	ds_load_b64 v[82:83], v188
	;; [unrolled: 1-line block ×4, first 2 shown]
	v_add_nc_u32_e32 v7, v53, v7
	s_clause 0x1
	scratch_store_b32 off, v15, off
	scratch_store_b32 off, v11, off offset:4
	ds_load_2addr_b64 v[36:39], v18 offset0:114 offset1:166
	ds_load_2addr_b64 v[40:43], v19 offset0:90 offset1:142
	v_add_nc_u32_e32 v152, v52, v6
	ds_load_b64 v[88:89], v15
	ds_load_b64 v[90:91], v11
	;; [unrolled: 1-line block ×4, first 2 shown]
	ds_load_2addr_b64 v[52:55], v19 offset0:194 offset1:246
	ds_load_b64 v[116:117], v7
	ds_load_b64 v[118:119], v152
	v_lshlrev_b32_e32 v148, 1, v186
	v_lshlrev_b32_e32 v153, 1, v154
	;; [unrolled: 1-line block ×10, first 2 shown]
	s_and_saveexec_b32 s0, s1
	s_cbranch_execz .LBB0_23
; %bb.22:
	ds_load_b64 v[48:49], v187 offset:4160
	ds_load_b64 v[50:51], v187 offset:8528
.LBB0_23:
	s_wait_alu 0xfffe
	s_or_b32 exec_lo, exec_lo, s0
	v_and_b32_e32 v120, 1, v186
	v_lshlrev_b32_e32 v121, 1, v66
	s_delay_alu instid0(VALU_DEP_2)
	v_lshlrev_b32_e32 v6, 4, v120
	v_and_or_b32 v22, 0x3fc, v22, v120
	v_and_or_b32 v23, 0x3fc, v23, v120
	;; [unrolled: 1-line block ×3, first 2 shown]
	global_load_b128 v[72:75], v6, s[8:9]
	v_lshl_add_u32 v129, v22, 3, 0
	v_lshl_add_u32 v130, v23, 3, 0
	;; [unrolled: 1-line block ×3, first 2 shown]
	global_wb scope:SCOPE_SE
	s_wait_storecnt 0x0
	s_wait_loadcnt_dscnt 0x0
	s_barrier_signal -1
	s_barrier_wait -1
	global_inv scope:SCOPE_SE
	v_mul_f64_e32 v[6:7], v[0:1], v[74:75]
	v_mul_f64_e32 v[10:11], v[2:3], v[74:75]
	;; [unrolled: 1-line block ×11, first 2 shown]
	v_fma_f64 v[6:7], v[98:99], v[72:73], v[6:7]
	v_fma_f64 v[10:11], v[100:101], v[72:73], v[10:11]
	;; [unrolled: 1-line block ×11, first 2 shown]
	v_add_f64_e64 v[132:133], v[4:5], -v[6:7]
	v_add_f64_e64 v[134:135], v[8:9], -v[10:11]
	;; [unrolled: 1-line block ×11, first 2 shown]
	v_fma_f64 v[64:65], v[4:5], 2.0, -v[132:133]
	v_fma_f64 v[67:68], v[8:9], 2.0, -v[134:135]
	;; [unrolled: 1-line block ×11, first 2 shown]
	v_and_or_b32 v29, 0x7c, v148, v120
	v_and_or_b32 v44, 0xfc, v153, v120
	v_and_or_b32 v45, 0x1fc, v155, v120
	v_and_or_b32 v56, 0x1fc, v157, v120
	v_and_or_b32 v57, 0x3fc, v159, v120
	v_and_or_b32 v58, 0x2fc, v150, v120
	v_and_or_b32 v59, 0x2fc, v151, v120
	v_lshl_add_u32 v122, v29, 3, 0
	v_lshl_add_u32 v123, v44, 3, 0
	v_lshl_add_u32 v124, v45, 3, 0
	v_lshl_add_u32 v125, v56, 3, 0
	v_lshl_add_u32 v126, v57, 3, 0
	v_lshl_add_u32 v127, v58, 3, 0
	v_lshl_add_u32 v128, v59, 3, 0
	ds_store_2addr_b64 v122, v[64:65], v[132:133] offset1:2
	ds_store_2addr_b64 v123, v[67:68], v[134:135] offset1:2
	;; [unrolled: 1-line block ×10, first 2 shown]
	s_and_saveexec_b32 s0, s1
	s_cbranch_execz .LBB0_25
; %bb.24:
	v_and_or_b32 v20, 0x47c, v121, v120
	s_delay_alu instid0(VALU_DEP_1)
	v_lshl_add_u32 v20, v20, 3, 0
	ds_store_2addr_b64 v20, v[4:5], v[6:7] offset1:2
.LBB0_25:
	s_wait_alu 0xfffe
	s_or_b32 exec_lo, exec_lo, s0
	v_add_nc_u32_e32 v20, 0x800, v187
	v_add_nc_u32_e32 v21, 0xc00, v187
	;; [unrolled: 1-line block ×4, first 2 shown]
	global_wb scope:SCOPE_SE
	s_wait_dscnt 0x0
	s_barrier_signal -1
	s_barrier_wait -1
	global_inv scope:SCOPE_SE
	ds_load_2addr_b64 v[28:31], v187 offset1:84
	ds_load_2addr_b64 v[76:79], v187 offset0:168 offset1:252
	ds_load_2addr_b64 v[68:71], v20 offset0:80 offset1:164
	;; [unrolled: 1-line block ×5, first 2 shown]
	ds_load_b64 v[168:169], v187 offset:8064
	v_cmp_gt_u32_e64 s0, 32, v186
                                        ; implicit-def: $vgpr22_vgpr23
                                        ; implicit-def: $vgpr26_vgpr27
	s_delay_alu instid0(VALU_DEP_1)
	s_and_saveexec_b32 s4, s0
	s_cbranch_execz .LBB0_27
; %bb.26:
	v_add_nc_u32_e32 v22, 0x1c00, v187
	ds_load_b64 v[162:163], v188
	ds_load_2addr_b64 v[16:19], v187 offset0:136 offset1:220
	ds_load_2addr_b64 v[12:15], v20 offset0:48 offset1:132
	;; [unrolled: 1-line block ×6, first 2 shown]
.LBB0_27:
	s_wait_alu 0xfffe
	s_or_b32 exec_lo, exec_lo, s4
	v_mul_f64_e32 v[62:63], v[98:99], v[74:75]
	v_mul_f64_e32 v[98:99], v[100:101], v[74:75]
	;; [unrolled: 1-line block ×11, first 2 shown]
	global_wb scope:SCOPE_SE
	s_wait_dscnt 0x0
	s_barrier_signal -1
	s_barrier_wait -1
	global_inv scope:SCOPE_SE
	v_fma_f64 v[0:1], v[0:1], v[72:73], -v[62:63]
	v_fma_f64 v[2:3], v[2:3], v[72:73], -v[98:99]
	;; [unrolled: 1-line block ×11, first 2 shown]
	v_add_f64_e64 v[0:1], v[80:81], -v[0:1]
	v_add_f64_e64 v[2:3], v[82:83], -v[2:3]
	;; [unrolled: 1-line block ×11, first 2 shown]
	v_fma_f64 v[50:51], v[80:81], 2.0, -v[0:1]
	v_fma_f64 v[52:53], v[82:83], 2.0, -v[2:3]
	;; [unrolled: 1-line block ×11, first 2 shown]
	ds_store_2addr_b64 v122, v[50:51], v[0:1] offset1:2
	ds_store_2addr_b64 v123, v[52:53], v[2:3] offset1:2
	ds_store_2addr_b64 v124, v[54:55], v[72:73] offset1:2
	ds_store_2addr_b64 v125, v[80:81], v[74:75] offset1:2
	ds_store_2addr_b64 v126, v[82:83], v[94:95] offset1:2
	ds_store_2addr_b64 v127, v[84:85], v[96:97] offset1:2
	ds_store_2addr_b64 v128, v[86:87], v[160:161] offset1:2
	ds_store_2addr_b64 v129, v[60:61], v[62:63] offset1:2
	ds_store_2addr_b64 v130, v[40:41], v[42:43] offset1:2
	ds_store_2addr_b64 v131, v[36:37], v[38:39] offset1:2
	s_and_saveexec_b32 s4, s1
	s_cbranch_execz .LBB0_29
; %bb.28:
	v_and_or_b32 v0, 0x47c, v121, v120
	s_delay_alu instid0(VALU_DEP_1)
	v_lshl_add_u32 v0, v0, 3, 0
	ds_store_2addr_b64 v0, v[32:33], v[34:35] offset1:2
.LBB0_29:
	s_wait_alu 0xfffe
	s_or_b32 exec_lo, exec_lo, s4
	v_add_nc_u32_e32 v48, 0x800, v187
	v_add_nc_u32_e32 v49, 0xc00, v187
	v_add_nc_u32_e32 v52, 0x1000, v187
	v_add_nc_u32_e32 v53, 0x1800, v187
	global_wb scope:SCOPE_SE
	s_wait_dscnt 0x0
	s_barrier_signal -1
	s_barrier_wait -1
	global_inv scope:SCOPE_SE
	ds_load_2addr_b64 v[0:3], v187 offset1:84
	ds_load_2addr_b64 v[136:139], v187 offset0:168 offset1:252
	ds_load_2addr_b64 v[116:119], v48 offset0:80 offset1:164
	;; [unrolled: 1-line block ×5, first 2 shown]
	ds_load_b64 v[170:171], v187 offset:8064
                                        ; implicit-def: $vgpr50_vgpr51
                                        ; implicit-def: $vgpr54_vgpr55
	s_and_saveexec_b32 s1, s0
	s_cbranch_execz .LBB0_31
; %bb.30:
	v_add_nc_u32_e32 v50, 0x1c00, v187
	ds_load_b64 v[160:161], v188
	ds_load_2addr_b64 v[60:63], v187 offset0:136 offset1:220
	ds_load_2addr_b64 v[40:43], v48 offset0:48 offset1:132
	;; [unrolled: 1-line block ×6, first 2 shown]
.LBB0_31:
	s_wait_alu 0xfffe
	s_or_b32 exec_lo, exec_lo, s1
	v_and_b32_e32 v156, 3, v186
	s_mov_b32 s10, 0x4267c47c
	s_mov_b32 s4, 0x42a4c3d2
	;; [unrolled: 1-line block ×4, first 2 shown]
	v_mul_u32_u24_e32 v72, 12, v156
	s_mov_b32 s18, 0x24c2f84
	s_mov_b32 s11, 0xbfddbe06
	;; [unrolled: 1-line block ×4, first 2 shown]
	v_lshlrev_b32_e32 v120, 4, v72
	s_mov_b32 s15, 0xbfedeba7
	s_mov_b32 s19, 0xbfe5384d
	;; [unrolled: 1-line block ×4, first 2 shown]
	s_clause 0xb
	global_load_b128 v[132:135], v120, s[8:9] offset:32
	global_load_b128 v[88:91], v120, s[8:9] offset:48
	;; [unrolled: 1-line block ×12, first 2 shown]
	s_mov_b32 s38, 0xe00740e9
	s_mov_b32 s30, 0x1ea71119
	;; [unrolled: 1-line block ×12, first 2 shown]
	s_wait_alu 0xfffe
	s_mov_b32 s24, s18
	s_mov_b32 s20, s12
	;; [unrolled: 1-line block ×12, first 2 shown]
	global_wb scope:SCOPE_SE
	s_wait_loadcnt_dscnt 0x0
	s_barrier_signal -1
	s_barrier_wait -1
	global_inv scope:SCOPE_SE
	v_mul_f64_e32 v[164:165], v[2:3], v[134:135]
	v_mul_f64_e32 v[166:167], v[136:137], v[90:91]
	v_mul_f64_e32 v[172:173], v[30:31], v[134:135]
	v_mul_f64_e32 v[174:175], v[138:139], v[74:75]
	v_mul_f64_e32 v[178:179], v[168:169], v[82:83]
	v_mul_f64_e32 v[180:181], v[76:77], v[90:91]
	v_mul_f64_e32 v[184:185], v[116:117], v[98:99]
	v_mul_f64_e32 v[195:196], v[66:67], v[94:95]
	v_mul_f64_e32 v[197:198], v[170:171], v[82:83]
	v_mul_f64_e32 v[199:200], v[64:65], v[106:107]
	v_mul_f64_e32 v[201:202], v[142:143], v[94:95]
	v_mul_f64_e32 v[207:208], v[86:87], v[126:127]
	v_mul_f64_e32 v[209:210], v[114:115], v[110:111]
	v_mul_f64_e32 v[211:212], v[44:45], v[122:123]
	v_mul_f64_e32 v[237:238], v[112:113], v[122:123]
	v_mul_f64_e32 v[235:236], v[58:59], v[126:127]
	v_mul_f64_e32 v[192:193], v[16:17], v[134:135]
	v_mul_f64_e32 v[251:252], v[60:61], v[134:135]
	v_fma_f64 v[164:165], v[30:31], v[132:133], v[164:165]
	v_fma_f64 v[30:31], v[76:77], v[88:89], v[166:167]
	v_fma_f64 v[166:167], v[2:3], v[132:133], -v[172:173]
	v_fma_f64 v[76:77], v[78:79], v[72:73], v[174:175]
	v_fma_f64 v[2:3], v[170:171], v[80:81], -v[178:179]
	v_mul_f64_e32 v[174:175], v[78:79], v[74:75]
	v_mul_f64_e32 v[178:179], v[118:119], v[102:103]
	v_fma_f64 v[170:171], v[68:69], v[96:97], v[184:185]
	v_fma_f64 v[78:79], v[142:143], v[92:93], -v[195:196]
	v_fma_f64 v[182:183], v[136:137], v[88:89], -v[180:181]
	v_fma_f64 v[184:185], v[168:169], v[80:81], v[197:198]
	v_mul_f64_e32 v[68:69], v[68:69], v[98:99]
	v_mul_f64_e32 v[180:181], v[140:141], v[106:107]
	v_fma_f64 v[136:137], v[140:141], v[104:105], -v[199:200]
	v_mul_f64_e32 v[140:141], v[84:85], v[130:131]
	v_mul_f64_e32 v[195:196], v[46:47], v[110:111]
	v_fma_f64 v[112:113], v[112:113], v[120:121], -v[211:212]
	v_add_f64_e32 v[176:177], v[28:29], v[164:165]
	v_add_f64_e64 v[168:169], v[166:167], -v[2:3]
	v_add_f64_e32 v[197:198], v[164:165], v[184:185]
	v_fma_f64 v[180:181], v[64:65], v[104:105], v[180:181]
	v_fma_f64 v[114:115], v[114:115], v[108:109], -v[195:196]
	v_add_f64_e32 v[172:173], v[176:177], v[30:31]
	v_fma_f64 v[176:177], v[138:139], v[72:73], -v[174:175]
	v_fma_f64 v[138:139], v[70:71], v[100:101], v[178:179]
	v_fma_f64 v[178:179], v[66:67], v[92:93], v[201:202]
	v_add_f64_e64 v[66:67], v[182:183], -v[78:79]
	v_mul_f64_e32 v[199:200], s[10:11], v[168:169]
	v_mul_f64_e32 v[174:175], s[4:5], v[168:169]
	;; [unrolled: 1-line block ×7, first 2 shown]
	v_add_f64_e32 v[142:143], v[172:173], v[76:77]
	v_fma_f64 v[172:173], v[116:117], v[96:97], -v[68:69]
	v_fma_f64 v[116:117], v[56:57], v[128:129], v[140:141]
	v_add_f64_e64 v[64:65], v[176:177], -v[136:137]
	v_add_f64_e32 v[68:69], v[30:31], v[178:179]
	v_mul_f64_e32 v[195:196], s[4:5], v[66:67]
	v_fma_f64 v[213:214], v[197:198], s[38:39], v[199:200]
	v_mul_f64_e32 v[215:216], s[14:15], v[66:67]
	v_fma_f64 v[217:218], v[197:198], s[30:31], v[174:175]
	v_fma_f64 v[219:220], v[197:198], s[30:31], -v[174:175]
	v_mul_f64_e32 v[221:222], s[22:23], v[66:67]
	v_fma_f64 v[223:224], v[197:198], s[40:41], v[201:202]
	s_wait_alu 0xfffe
	v_mul_f64_e32 v[225:226], s[24:25], v[66:67]
	v_fma_f64 v[227:228], v[197:198], s[42:43], v[203:204]
	v_fma_f64 v[203:204], v[197:198], s[42:43], -v[203:204]
	v_mul_f64_e32 v[229:230], s[20:21], v[66:67]
	v_fma_f64 v[231:232], v[197:198], s[44:45], v[205:206]
	v_fma_f64 v[205:206], v[197:198], s[44:45], -v[205:206]
	;; [unrolled: 3-line block ×3, first 2 shown]
	v_fma_f64 v[199:200], v[197:198], s[38:39], -v[199:200]
	v_fma_f64 v[197:198], v[197:198], s[40:41], -v[201:202]
	v_mul_f64_e32 v[56:57], v[56:57], v[130:131]
	v_fma_f64 v[174:175], v[46:47], v[108:109], v[209:210]
	v_add_f64_e32 v[46:47], v[76:77], v[180:181]
	v_add_f64_e32 v[142:143], v[142:143], v[170:171]
	v_mul_f64_e32 v[209:210], s[26:27], v[64:65]
	v_mul_f64_e32 v[211:212], s[28:29], v[64:65]
	v_fma_f64 v[239:240], v[68:69], s[30:31], v[195:196]
	v_add_f64_e32 v[213:214], v[28:29], v[213:214]
	v_fma_f64 v[241:242], v[68:69], s[42:43], v[215:216]
	v_add_f64_e32 v[217:218], v[28:29], v[217:218]
	v_fma_f64 v[215:216], v[68:69], s[42:43], -v[215:216]
	v_add_f64_e32 v[219:220], v[28:29], v[219:220]
	v_fma_f64 v[243:244], v[68:69], s[46:47], v[221:222]
	v_add_f64_e32 v[223:224], v[28:29], v[223:224]
	v_mul_f64_e32 v[245:246], s[4:5], v[64:65]
	v_fma_f64 v[247:248], v[68:69], s[44:45], v[225:226]
	v_add_f64_e32 v[227:228], v[28:29], v[227:228]
	v_fma_f64 v[225:226], v[68:69], s[44:45], -v[225:226]
	v_add_f64_e32 v[203:204], v[28:29], v[203:204]
	v_fma_f64 v[249:250], v[68:69], s[40:41], v[229:230]
	v_add_f64_e32 v[231:232], v[28:29], v[231:232]
	v_fma_f64 v[229:230], v[68:69], s[40:41], -v[229:230]
	v_add_f64_e32 v[205:206], v[28:29], v[205:206]
	;; [unrolled: 4-line block ×3, first 2 shown]
	v_fma_f64 v[195:196], v[68:69], s[30:31], -v[195:196]
	v_fma_f64 v[68:69], v[68:69], s[46:47], -v[221:222]
	v_add_f64_e32 v[199:200], v[28:29], v[199:200]
	v_add_f64_e32 v[28:29], v[28:29], v[197:198]
	v_fma_f64 v[168:169], v[44:45], v[120:121], v[237:238]
	v_fma_f64 v[134:135], v[84:85], v[128:129], -v[56:57]
	v_add_f64_e32 v[44:45], v[170:171], v[174:175]
	v_add_f64_e32 v[140:141], v[142:143], v[138:139]
	v_fma_f64 v[142:143], v[118:119], v[100:101], -v[70:71]
	v_fma_f64 v[118:119], v[58:59], v[124:125], v[207:208]
	v_add_f64_e64 v[58:59], v[172:173], -v[114:115]
	v_mul_f64_e32 v[70:71], s[12:13], v[64:65]
	v_mul_f64_e32 v[207:208], s[22:23], v[64:65]
	v_mul_f64_e32 v[64:65], s[18:19], v[64:65]
	v_add_f64_e32 v[213:214], v[239:240], v[213:214]
	v_add_f64_e32 v[217:218], v[241:242], v[217:218]
	v_fma_f64 v[241:242], v[46:47], s[38:39], v[211:212]
	v_add_f64_e32 v[215:216], v[215:216], v[219:220]
	v_fma_f64 v[219:220], v[46:47], s[42:43], v[209:210]
	v_add_f64_e32 v[223:224], v[243:244], v[223:224]
	v_fma_f64 v[211:212], v[46:47], s[38:39], -v[211:212]
	v_mul_f64_e32 v[243:244], v[62:63], v[90:91]
	v_add_f64_e32 v[227:228], v[247:248], v[227:228]
	v_mul_f64_e32 v[247:248], v[18:19], v[90:91]
	v_add_f64_e32 v[203:204], v[225:226], v[203:204]
	v_fma_f64 v[225:226], v[46:47], s[30:31], v[245:246]
	v_add_f64_e32 v[231:232], v[249:250], v[231:232]
	v_fma_f64 v[245:246], v[46:47], s[30:31], -v[245:246]
	v_add_f64_e32 v[205:206], v[229:230], v[205:206]
	v_fma_f64 v[90:91], v[60:61], v[132:133], -v[192:193]
	v_add_f64_e32 v[233:234], v[253:254], v[233:234]
	v_mul_f64_e32 v[60:61], v[12:13], v[74:75]
	v_add_f64_e32 v[66:67], v[66:67], v[189:190]
	v_mul_f64_e32 v[189:190], v[40:41], v[74:75]
	v_add_f64_e32 v[192:193], v[195:196], v[199:200]
	v_add_f64_e32 v[28:29], v[68:69], v[28:29]
	;; [unrolled: 1-line block ×4, first 2 shown]
	v_fma_f64 v[140:141], v[86:87], v[124:125], -v[235:236]
	v_add_f64_e64 v[56:57], v[142:143], -v[112:113]
	v_mul_f64_e32 v[235:236], s[14:15], v[58:59]
	v_mul_f64_e32 v[84:85], s[24:25], v[58:59]
	;; [unrolled: 1-line block ×3, first 2 shown]
	v_fma_f64 v[237:238], v[46:47], s[46:47], v[207:208]
	v_fma_f64 v[207:208], v[46:47], s[46:47], -v[207:208]
	v_mul_f64_e32 v[239:240], s[12:13], v[58:59]
	v_mul_f64_e32 v[229:230], s[34:35], v[58:59]
	v_fma_f64 v[249:250], v[46:47], s[44:45], v[64:65]
	v_mul_f64_e32 v[58:59], s[36:37], v[58:59]
	v_fma_f64 v[64:65], v[46:47], s[44:45], -v[64:65]
	v_fma_f64 v[86:87], v[16:17], v[132:133], v[251:252]
	v_mul_f64_e32 v[132:133], v[42:43], v[98:99]
	v_add_f64_e32 v[227:228], v[241:242], v[227:228]
	v_mul_f64_e32 v[98:99], v[14:15], v[98:99]
	v_add_f64_e32 v[203:204], v[211:212], v[203:204]
	v_add_f64_e32 v[225:226], v[225:226], v[231:232]
	;; [unrolled: 1-line block ×4, first 2 shown]
	v_fma_f64 v[201:202], v[46:47], s[40:41], v[70:71]
	v_fma_f64 v[70:71], v[46:47], s[40:41], -v[70:71]
	v_fma_f64 v[46:47], v[46:47], s[42:43], -v[209:210]
	v_add_f64_e64 v[16:17], v[134:135], -v[140:141]
	v_mul_f64_e32 v[195:196], s[18:19], v[56:57]
	v_add_f64_e32 v[209:210], v[237:238], v[217:218]
	v_add_f64_e32 v[207:208], v[207:208], v[215:216]
	v_fma_f64 v[215:216], v[44:45], s[44:45], v[84:85]
	v_add_f64_e32 v[217:218], v[219:220], v[223:224]
	v_mul_f64_e32 v[219:220], s[34:35], v[56:57]
	v_fma_f64 v[223:224], v[44:45], s[44:45], -v[84:85]
	v_fma_f64 v[237:238], v[44:45], s[38:39], v[221:222]
	v_fma_f64 v[211:212], v[44:45], s[40:41], v[239:240]
	v_mul_f64_e32 v[231:232], s[28:29], v[56:57]
	v_fma_f64 v[239:240], v[44:45], s[40:41], -v[239:240]
	v_fma_f64 v[241:242], v[44:45], s[46:47], v[229:230]
	v_fma_f64 v[229:230], v[44:45], s[46:47], -v[229:230]
	v_add_f64_e32 v[233:234], v[249:250], v[233:234]
	v_fma_f64 v[245:246], v[44:45], s[30:31], v[58:59]
	v_fma_f64 v[58:59], v[44:45], s[30:31], -v[58:59]
	v_add_f64_e32 v[64:65], v[64:65], v[66:67]
	v_fma_f64 v[66:67], v[18:19], v[88:89], v[243:244]
	v_add_f64_e32 v[18:19], v[116:117], v[118:119]
	v_fma_f64 v[84:85], v[62:63], v[88:89], -v[247:248]
	v_mul_f64_e32 v[88:89], v[36:37], v[102:103]
	v_mul_f64_e32 v[102:103], v[8:9], v[102:103]
	v_add_f64_e32 v[68:69], v[197:198], v[168:169]
	v_mul_f64_e32 v[197:198], s[20:21], v[56:57]
	v_add_f64_e32 v[199:200], v[201:202], v[213:214]
	v_mul_f64_e32 v[201:202], s[4:5], v[56:57]
	v_fma_f64 v[213:214], v[44:45], s[42:43], v[235:236]
	v_mul_f64_e32 v[56:57], s[14:15], v[56:57]
	v_fma_f64 v[235:236], v[44:45], s[42:43], -v[235:236]
	v_fma_f64 v[44:45], v[44:45], s[38:39], -v[221:222]
	v_add_f64_e32 v[28:29], v[46:47], v[28:29]
	v_mul_f64_e32 v[243:244], s[22:23], v[16:17]
	v_mul_f64_e32 v[62:63], s[28:29], v[16:17]
	;; [unrolled: 1-line block ×4, first 2 shown]
	v_add_f64_e32 v[209:210], v[215:216], v[209:210]
	v_add_f64_e32 v[207:208], v[223:224], v[207:208]
	;; [unrolled: 1-line block ×3, first 2 shown]
	v_fma_f64 v[223:224], v[74:75], s[46:47], v[219:220]
	v_add_f64_e32 v[211:212], v[211:212], v[227:228]
	v_fma_f64 v[219:220], v[74:75], s[46:47], -v[219:220]
	v_add_f64_e32 v[203:204], v[239:240], v[203:204]
	v_fma_f64 v[227:228], v[74:75], s[38:39], v[231:232]
	v_add_f64_e32 v[225:226], v[241:242], v[225:226]
	v_fma_f64 v[231:232], v[74:75], s[38:39], -v[231:232]
	v_add_f64_e32 v[205:206], v[229:230], v[205:206]
	v_add_f64_e32 v[233:234], v[245:246], v[233:234]
	;; [unrolled: 1-line block ×3, first 2 shown]
	v_fma_f64 v[64:65], v[74:75], s[44:45], -v[195:196]
	v_add_f64_e32 v[46:47], v[68:69], v[174:175]
	v_add_f64_e32 v[68:69], v[70:71], v[192:193]
	v_mul_f64_e32 v[70:71], s[14:15], v[16:17]
	v_mul_f64_e32 v[16:17], s[20:21], v[16:17]
	v_add_f64_e32 v[199:200], v[213:214], v[199:200]
	v_fma_f64 v[213:214], v[74:75], s[44:45], v[195:196]
	v_fma_f64 v[215:216], v[74:75], s[40:41], v[197:198]
	v_fma_f64 v[197:198], v[74:75], s[40:41], -v[197:198]
	v_fma_f64 v[221:222], v[74:75], s[30:31], v[201:202]
	v_fma_f64 v[229:230], v[74:75], s[42:43], v[56:57]
	v_fma_f64 v[56:57], v[74:75], s[42:43], -v[56:57]
	v_fma_f64 v[74:75], v[74:75], s[30:31], -v[201:202]
	v_add_f64_e32 v[28:29], v[44:45], v[28:29]
	v_mul_f64_e32 v[192:193], v[38:39], v[130:131]
	v_mul_f64_e32 v[130:131], v[10:11], v[130:131]
	v_fma_f64 v[195:196], v[18:19], s[46:47], v[243:244]
	v_fma_f64 v[201:202], v[18:19], s[46:47], -v[243:244]
	v_fma_f64 v[237:238], v[18:19], s[38:39], v[62:63]
	v_fma_f64 v[239:240], v[18:19], s[38:39], -v[62:63]
	;; [unrolled: 2-line block ×4, first 2 shown]
	v_add_f64_e32 v[203:204], v[219:220], v[203:204]
	v_add_f64_e32 v[205:206], v[231:232], v[205:206]
	v_mul_f64_e32 v[219:220], v[48:49], v[94:95]
	v_mul_f64_e32 v[94:95], v[20:21], v[94:95]
	;; [unrolled: 1-line block ×3, first 2 shown]
	v_add_f64_e32 v[211:212], v[223:224], v[211:212]
	v_fma_f64 v[62:63], v[36:37], v[100:101], -v[102:103]
	v_add_f64_e32 v[44:45], v[46:47], v[180:181]
	v_add_f64_e32 v[46:47], v[235:236], v[68:69]
	v_fma_f64 v[235:236], v[18:19], s[42:43], v[70:71]
	v_fma_f64 v[249:250], v[18:19], s[42:43], -v[70:71]
	v_fma_f64 v[251:252], v[18:19], s[40:41], v[16:17]
	v_fma_f64 v[16:17], v[18:19], s[40:41], -v[16:17]
	v_mul_f64_e32 v[18:19], v[32:33], v[126:127]
	v_add_f64_e32 v[199:200], v[213:214], v[199:200]
	v_mul_f64_e32 v[68:69], v[4:5], v[126:127]
	v_add_f64_e32 v[126:127], v[215:216], v[209:210]
	;; [unrolled: 2-line block ×4, first 2 shown]
	v_mul_f64_e32 v[213:214], v[52:53], v[110:111]
	v_mul_f64_e32 v[110:111], v[24:25], v[110:111]
	v_mul_f64_e32 v[215:216], v[54:55], v[106:107]
	v_add_f64_e32 v[217:218], v[227:228], v[225:226]
	v_mul_f64_e32 v[106:107], v[26:27], v[106:107]
	v_mul_f64_e32 v[225:226], v[50:51], v[82:83]
	v_add_f64_e32 v[221:222], v[229:230], v[233:234]
	v_add_f64_e32 v[223:224], v[56:57], v[58:59]
	v_add_f64_e32 v[28:29], v[74:75], v[28:29]
	v_fma_f64 v[74:75], v[12:13], v[72:73], v[189:190]
	v_fma_f64 v[72:73], v[40:41], v[72:73], -v[60:61]
	v_fma_f64 v[70:71], v[42:43], v[96:97], -v[98:99]
	v_fma_f64 v[56:57], v[8:9], v[100:101], v[88:89]
	v_fma_f64 v[40:41], v[10:11], v[128:129], v[192:193]
	v_add_f64_e32 v[12:13], v[245:246], v[211:212]
	v_lshrrev_b32_e32 v88, 2, v154
	v_add_f64_e32 v[227:228], v[44:45], v[178:179]
	v_add_f64_e32 v[229:230], v[64:65], v[46:47]
	v_fma_f64 v[64:65], v[14:15], v[96:97], v[132:133]
	v_fma_f64 v[44:45], v[38:39], v[128:129], -v[130:131]
	v_add_f64_e32 v[14:15], v[247:248], v[203:204]
	v_fma_f64 v[38:39], v[4:5], v[124:125], v[18:19]
	v_add_f64_e32 v[4:5], v[195:196], v[199:200]
	v_fma_f64 v[46:47], v[32:33], v[124:125], -v[68:69]
	v_fma_f64 v[32:33], v[48:49], v[92:93], -v[94:95]
	v_fma_f64 v[58:59], v[6:7], v[120:121], v[209:210]
	v_add_f64_e32 v[6:7], v[237:238], v[126:127]
	v_fma_f64 v[60:61], v[34:35], v[120:121], -v[122:123]
	v_add_f64_e32 v[10:11], v[241:242], v[207:208]
	v_fma_f64 v[68:69], v[24:25], v[108:109], v[213:214]
	v_fma_f64 v[42:43], v[52:53], v[108:109], -v[110:111]
	v_fma_f64 v[52:53], v[26:27], v[104:105], v[215:216]
	v_fma_f64 v[34:35], v[50:51], v[80:81], -v[231:232]
	v_fma_f64 v[36:37], v[54:55], v[104:105], -v[106:107]
	v_fma_f64 v[54:55], v[20:21], v[92:93], v[219:220]
	v_fma_f64 v[82:83], v[22:23], v[80:81], v[225:226]
	v_add_f64_e32 v[18:19], v[235:236], v[217:218]
	v_add_f64_e32 v[20:21], v[251:252], v[221:222]
	;; [unrolled: 1-line block ×6, first 2 shown]
	v_lshrrev_b32_e32 v48, 2, v186
	s_delay_alu instid0(VALU_DEP_1) | instskip(NEXT) | instid1(VALU_DEP_1)
	v_mul_u32_u24_e32 v48, 52, v48
	v_or_b32_e32 v48, v48, v156
	v_add_f64_e32 v[26:27], v[227:228], v[184:185]
	v_add_f64_e32 v[28:29], v[201:202], v[229:230]
	s_delay_alu instid0(VALU_DEP_3)
	v_lshl_add_u32 v89, v48, 3, 0
	ds_store_2addr_b64 v89, v[6:7], v[10:11] offset0:8 offset1:12
	ds_store_2addr_b64 v89, v[12:13], v[18:19] offset0:16 offset1:20
	;; [unrolled: 1-line block ×5, first 2 shown]
	ds_store_2addr_b64 v89, v[26:27], v[4:5] offset1:4
	ds_store_b64 v89, v[28:29] offset:384
	s_and_saveexec_b32 s1, s0
	s_cbranch_execz .LBB0_33
; %bb.32:
	v_add_f64_e32 v[4:5], v[162:163], v[86:87]
	v_add_f64_e64 v[6:7], v[90:91], -v[34:35]
	v_add_f64_e64 v[8:9], v[84:85], -v[32:33]
	v_add_f64_e32 v[10:11], v[86:87], v[82:83]
	v_add_f64_e64 v[22:23], v[72:73], -v[36:37]
	v_add_f64_e32 v[24:25], v[66:67], v[54:55]
	v_add_f64_e32 v[104:105], v[74:75], v[52:53]
	;; [unrolled: 1-line block ×3, first 2 shown]
	v_mul_f64_e32 v[12:13], s[22:23], v[6:7]
	v_mul_f64_e32 v[14:15], s[18:19], v[6:7]
	;; [unrolled: 1-line block ×18, first 2 shown]
	v_add_f64_e32 v[4:5], v[4:5], v[74:75]
	v_fma_f64 v[92:93], v[10:11], s[46:47], -v[12:13]
	v_fma_f64 v[12:13], v[10:11], s[46:47], v[12:13]
	v_fma_f64 v[94:95], v[10:11], s[44:45], -v[14:15]
	v_fma_f64 v[14:15], v[10:11], s[44:45], v[14:15]
	;; [unrolled: 2-line block ×3, first 2 shown]
	v_fma_f64 v[100:101], v[10:11], s[30:31], v[20:21]
	v_fma_f64 v[16:17], v[10:11], s[42:43], v[16:17]
	v_fma_f64 v[18:19], v[10:11], s[40:41], -v[18:19]
	v_fma_f64 v[20:21], v[10:11], s[30:31], -v[20:21]
	v_fma_f64 v[102:103], v[10:11], s[38:39], v[6:7]
	v_fma_f64 v[6:7], v[10:11], s[38:39], -v[6:7]
	v_add_f64_e64 v[10:11], v[70:71], -v[42:43]
	v_fma_f64 v[124:125], v[24:25], s[38:39], -v[26:27]
	v_fma_f64 v[26:27], v[24:25], s[38:39], v[26:27]
	v_fma_f64 v[126:127], v[24:25], s[40:41], -v[28:29]
	v_fma_f64 v[28:29], v[24:25], s[40:41], v[28:29]
	;; [unrolled: 2-line block ×6, first 2 shown]
	v_fma_f64 v[203:204], v[104:105], s[44:45], -v[106:107]
	v_fma_f64 v[205:206], v[104:105], s[30:31], -v[108:109]
	;; [unrolled: 1-line block ×4, first 2 shown]
	v_fma_f64 v[120:121], v[104:105], s[42:43], v[120:121]
	v_fma_f64 v[211:212], v[104:105], s[46:47], -v[122:123]
	v_fma_f64 v[122:123], v[104:105], s[46:47], v[122:123]
	v_fma_f64 v[108:109], v[104:105], s[30:31], v[108:109]
	;; [unrolled: 1-line block ×4, first 2 shown]
	v_fma_f64 v[213:214], v[104:105], s[40:41], -v[22:23]
	v_fma_f64 v[22:23], v[104:105], s[40:41], v[22:23]
	v_add_f64_e32 v[4:5], v[4:5], v[64:65]
	v_add_f64_e32 v[24:25], v[162:163], v[92:93]
	;; [unrolled: 1-line block ×13, first 2 shown]
	v_add_f64_e64 v[102:103], v[62:63], -v[60:61]
	v_add_f64_e32 v[162:163], v[64:65], v[68:69]
	v_mul_f64_e32 v[192:193], s[36:37], v[10:11]
	v_mul_f64_e32 v[195:196], s[34:35], v[10:11]
	v_mul_f64_e32 v[197:198], s[12:13], v[10:11]
	v_mul_f64_e32 v[199:200], s[28:29], v[10:11]
	v_mul_f64_e32 v[201:202], s[24:25], v[10:11]
	v_mul_f64_e32 v[10:11], s[14:15], v[10:11]
	v_add_f64_e32 v[4:5], v[4:5], v[56:57]
	v_add_f64_e32 v[24:25], v[124:125], v[24:25]
	;; [unrolled: 1-line block ×13, first 2 shown]
	v_add_f64_e64 v[48:49], v[44:45], -v[46:47]
	v_add_f64_e32 v[92:93], v[56:57], v[58:59]
	v_mul_f64_e32 v[94:95], s[14:15], v[102:103]
	v_mul_f64_e32 v[96:97], s[28:29], v[102:103]
	;; [unrolled: 1-line block ×5, first 2 shown]
	v_fma_f64 v[124:125], v[162:163], s[30:31], -v[192:193]
	v_fma_f64 v[126:127], v[162:163], s[30:31], v[192:193]
	v_fma_f64 v[128:129], v[162:163], s[46:47], -v[195:196]
	v_fma_f64 v[130:131], v[162:163], s[46:47], v[195:196]
	v_fma_f64 v[132:133], v[162:163], s[40:41], -v[197:198]
	v_fma_f64 v[192:193], v[162:163], s[38:39], -v[199:200]
	v_fma_f64 v[195:196], v[162:163], s[38:39], v[199:200]
	v_fma_f64 v[199:200], v[162:163], s[44:45], v[201:202]
	;; [unrolled: 1-line block ×3, first 2 shown]
	v_fma_f64 v[197:198], v[162:163], s[44:45], -v[201:202]
	v_mul_f64_e32 v[102:103], s[18:19], v[102:103]
	v_fma_f64 v[201:202], v[162:163], s[42:43], -v[10:11]
	v_fma_f64 v[10:11], v[162:163], s[42:43], v[10:11]
	v_add_f64_e32 v[4:5], v[4:5], v[40:41]
	v_add_f64_e32 v[24:25], v[203:204], v[24:25]
	;; [unrolled: 1-line block ×14, first 2 shown]
	v_mul_f64_e32 v[106:107], s[20:21], v[48:49]
	v_mul_f64_e32 v[108:109], s[14:15], v[48:49]
	;; [unrolled: 1-line block ×6, first 2 shown]
	v_fma_f64 v[162:163], v[92:93], s[42:43], -v[94:95]
	v_fma_f64 v[203:204], v[92:93], s[38:39], -v[96:97]
	;; [unrolled: 1-line block ×4, first 2 shown]
	v_fma_f64 v[100:101], v[92:93], s[30:31], v[100:101]
	v_fma_f64 v[209:210], v[92:93], s[40:41], -v[104:105]
	v_fma_f64 v[104:105], v[92:93], s[40:41], v[104:105]
	v_fma_f64 v[96:97], v[92:93], s[38:39], v[96:97]
	v_fma_f64 v[98:99], v[92:93], s[46:47], v[98:99]
	v_fma_f64 v[94:95], v[92:93], s[42:43], v[94:95]
	v_fma_f64 v[211:212], v[92:93], s[44:45], -v[102:103]
	v_fma_f64 v[92:93], v[92:93], s[44:45], v[102:103]
	v_add_f64_e32 v[4:5], v[4:5], v[38:39]
	v_add_f64_e32 v[24:25], v[124:125], v[24:25]
	;; [unrolled: 1-line block ×13, first 2 shown]
	v_fma_f64 v[10:11], v[22:23], s[40:41], -v[106:107]
	v_fma_f64 v[102:103], v[22:23], s[40:41], v[106:107]
	v_fma_f64 v[106:107], v[22:23], s[42:43], -v[108:109]
	v_fma_f64 v[108:109], v[22:23], s[42:43], v[108:109]
	;; [unrolled: 2-line block ×6, first 2 shown]
	v_add_f64_e32 v[4:5], v[4:5], v[58:59]
	v_add_f64_e32 v[24:25], v[162:163], v[24:25]
	v_add_f64_e32 v[12:13], v[94:95], v[12:13]
	v_add_f64_e32 v[26:27], v[203:204], v[26:27]
	v_add_f64_e32 v[14:15], v[96:97], v[14:15]
	v_add_f64_e32 v[28:29], v[205:206], v[28:29]
	v_add_f64_e32 v[48:49], v[100:101], v[50:51]
	v_add_f64_e32 v[50:51], v[104:105], v[80:81]
	v_add_f64_e32 v[16:17], v[98:99], v[16:17]
	v_add_f64_e32 v[18:19], v[207:208], v[18:19]
	v_add_f64_e32 v[20:21], v[209:210], v[20:21]
	v_add_f64_e32 v[8:9], v[92:93], v[8:9]
	v_add_f64_e32 v[6:7], v[211:212], v[6:7]
	v_add_f64_e32 v[4:5], v[4:5], v[68:69]
	v_add_f64_e32 v[10:11], v[10:11], v[24:25]
	v_add_f64_e32 v[12:13], v[102:103], v[12:13]
	v_add_f64_e32 v[24:25], v[106:107], v[26:27]
	v_add_f64_e32 v[14:15], v[108:109], v[14:15]
	v_add_f64_e32 v[26:27], v[124:125], v[28:29]
	v_add_f64_e32 v[28:29], v[120:121], v[48:49]
	v_add_f64_e32 v[48:49], v[122:123], v[50:51]
	v_add_f64_e32 v[16:17], v[110:111], v[16:17]
	v_add_f64_e32 v[18:19], v[126:127], v[18:19]
	v_add_f64_e32 v[20:21], v[128:129], v[20:21]
	v_add_f64_e32 v[8:9], v[22:23], v[8:9]
	v_add_f64_e32 v[6:7], v[130:131], v[6:7]
	v_mul_lo_u32 v22, v88, 52
	s_delay_alu instid0(VALU_DEP_1) | instskip(NEXT) | instid1(VALU_DEP_1)
	v_or_b32_e32 v22, v22, v156
	v_lshl_add_u32 v22, v22, 3, 0
	v_add_f64_e32 v[4:5], v[4:5], v[52:53]
	s_delay_alu instid0(VALU_DEP_1) | instskip(NEXT) | instid1(VALU_DEP_1)
	v_add_f64_e32 v[4:5], v[4:5], v[54:55]
	v_add_f64_e32 v[4:5], v[4:5], v[82:83]
	ds_store_2addr_b64 v22, v[48:49], v[28:29] offset0:8 offset1:12
	ds_store_2addr_b64 v22, v[16:17], v[14:15] offset0:16 offset1:20
	;; [unrolled: 1-line block ×5, first 2 shown]
	ds_store_2addr_b64 v22, v[4:5], v[8:9] offset1:4
	ds_store_b64 v22, v[6:7] offset:384
.LBB0_33:
	s_wait_alu 0xfffe
	s_or_b32 exec_lo, exec_lo, s1
	v_add_f64_e32 v[4:5], v[0:1], v[166:167]
	v_add_f64_e32 v[6:7], v[166:167], v[2:3]
	;; [unrolled: 1-line block ×3, first 2 shown]
	v_add_f64_e64 v[10:11], v[164:165], -v[184:185]
	v_add_f64_e32 v[22:23], v[176:177], v[136:137]
	v_add_f64_e64 v[24:25], v[30:31], -v[178:179]
	global_wb scope:SCOPE_SE
	s_wait_dscnt 0x0
	s_barrier_signal -1
	s_barrier_wait -1
	global_inv scope:SCOPE_SE
	v_add_f64_e32 v[4:5], v[4:5], v[182:183]
	v_mul_f64_e32 v[12:13], s[38:39], v[6:7]
	v_mul_f64_e32 v[14:15], s[30:31], v[6:7]
	;; [unrolled: 1-line block ×18, first 2 shown]
	v_add_f64_e32 v[4:5], v[4:5], v[176:177]
	v_fma_f64 v[80:81], v[10:11], s[28:29], v[12:13]
	v_fma_f64 v[92:93], v[10:11], s[36:37], v[14:15]
	;; [unrolled: 1-line block ×12, first 2 shown]
	v_add_f64_e64 v[12:13], v[76:77], -v[180:181]
	v_add_f64_e32 v[76:77], v[172:173], v[114:115]
	v_fma_f64 v[120:121], v[24:25], s[36:37], v[26:27]
	v_fma_f64 v[26:27], v[24:25], s[4:5], v[26:27]
	;; [unrolled: 1-line block ×12, first 2 shown]
	v_add_f64_e32 v[4:5], v[4:5], v[172:173]
	v_add_f64_e32 v[24:25], v[0:1], v[80:81]
	;; [unrolled: 1-line block ×13, first 2 shown]
	v_add_f64_e64 v[10:11], v[170:171], -v[174:175]
	v_add_f64_e32 v[100:101], v[142:143], v[112:113]
	v_mul_f64_e32 v[162:163], s[38:39], v[76:77]
	v_fma_f64 v[170:171], v[12:13], s[20:21], v[102:103]
	v_fma_f64 v[102:103], v[12:13], s[12:13], v[102:103]
	;; [unrolled: 1-line block ×12, first 2 shown]
	v_mul_f64_e32 v[132:133], s[42:43], v[76:77]
	v_mul_f64_e32 v[164:165], s[40:41], v[76:77]
	v_mul_f64_e32 v[166:167], s[46:47], v[76:77]
	v_add_f64_e32 v[4:5], v[4:5], v[142:143]
	v_mul_f64_e32 v[142:143], s[44:45], v[76:77]
	v_add_f64_e32 v[22:23], v[120:121], v[24:25]
	v_add_f64_e32 v[24:25], v[122:123], v[80:81]
	;; [unrolled: 1-line block ×4, first 2 shown]
	v_mul_f64_e32 v[76:77], s[30:31], v[76:77]
	v_add_f64_e32 v[80:81], v[126:127], v[94:95]
	v_add_f64_e32 v[18:19], v[48:49], v[18:19]
	;; [unrolled: 1-line block ×8, first 2 shown]
	v_add_f64_e64 v[20:21], v[138:139], -v[168:169]
	v_add_f64_e32 v[26:27], v[134:135], v[140:141]
	v_mul_f64_e32 v[50:51], s[40:41], v[100:101]
	v_mul_f64_e32 v[94:95], s[30:31], v[100:101]
	v_fma_f64 v[126:127], v[10:11], s[10:11], v[162:163]
	v_mul_f64_e32 v[96:97], s[46:47], v[100:101]
	v_mul_f64_e32 v[98:99], s[38:39], v[100:101]
	v_fma_f64 v[128:129], v[10:11], s[28:29], v[162:163]
	;; [unrolled: 3-line block ×3, first 2 shown]
	v_fma_f64 v[130:131], v[10:11], s[20:21], v[164:165]
	v_fma_f64 v[138:139], v[10:11], s[34:35], v[166:167]
	v_add_f64_e32 v[4:5], v[4:5], v[134:135]
	v_fma_f64 v[122:123], v[10:11], s[18:19], v[142:143]
	v_fma_f64 v[124:125], v[10:11], s[24:25], v[142:143]
	v_add_f64_e32 v[24:25], v[172:173], v[24:25]
	v_fma_f64 v[134:135], v[10:11], s[22:23], v[166:167]
	v_add_f64_e32 v[28:29], v[174:175], v[28:29]
	v_add_f64_e32 v[14:15], v[104:105], v[14:15]
	;; [unrolled: 1-line block ×9, first 2 shown]
	v_add_f64_e64 v[16:17], v[116:117], -v[118:119]
	v_mul_f64_e32 v[102:103], s[38:39], v[26:27]
	v_mul_f64_e32 v[104:105], s[44:45], v[26:27]
	;; [unrolled: 1-line block ×4, first 2 shown]
	v_fma_f64 v[116:117], v[20:21], s[36:37], v[94:95]
	v_fma_f64 v[118:119], v[20:21], s[22:23], v[96:97]
	;; [unrolled: 1-line block ×9, first 2 shown]
	v_add_f64_e32 v[4:5], v[4:5], v[140:141]
	v_fma_f64 v[140:141], v[10:11], s[4:5], v[76:77]
	v_add_f64_e32 v[24:25], v[122:123], v[24:25]
	v_add_f64_e32 v[28:29], v[126:127], v[28:29]
	;; [unrolled: 1-line block ×6, first 2 shown]
	v_fma_f64 v[120:121], v[16:17], s[4:5], v[106:107]
	v_fma_f64 v[106:107], v[16:17], s[36:37], v[106:107]
	;; [unrolled: 1-line block ×4, first 2 shown]
	v_add_f64_e32 v[4:5], v[4:5], v[112:113]
	v_fma_f64 v[112:113], v[10:11], s[26:27], v[132:133]
	v_fma_f64 v[132:133], v[10:11], s[12:13], v[164:165]
	;; [unrolled: 1-line block ×3, first 2 shown]
	v_add_f64_e32 v[76:77], v[176:177], v[80:81]
	v_add_f64_e32 v[80:81], v[180:181], v[92:93]
	v_mul_f64_e32 v[92:93], s[46:47], v[26:27]
	v_mul_f64_e32 v[26:27], s[40:41], v[26:27]
	v_add_f64_e32 v[48:49], v[142:143], v[48:49]
	v_add_f64_e32 v[8:9], v[98:99], v[8:9]
	v_add_f64_e32 v[0:1], v[30:31], v[0:1]
	v_add_f64_e32 v[4:5], v[4:5], v[114:115]
	v_fma_f64 v[114:115], v[20:21], s[12:13], v[50:51]
	v_fma_f64 v[50:51], v[20:21], s[20:21], v[50:51]
	;; [unrolled: 1-line block ×3, first 2 shown]
	v_add_f64_e32 v[76:77], v[130:131], v[76:77]
	v_add_f64_e32 v[80:81], v[140:141], v[80:81]
	;; [unrolled: 1-line block ×6, first 2 shown]
	v_fma_f64 v[12:13], v[16:17], s[34:35], v[92:93]
	v_fma_f64 v[92:93], v[16:17], s[22:23], v[92:93]
	;; [unrolled: 1-line block ×8, first 2 shown]
	v_add_f64_e32 v[26:27], v[116:117], v[28:29]
	v_add_f64_e32 v[108:109], v[108:109], v[8:9]
	v_add_f64_e32 v[4:5], v[4:5], v[136:137]
	v_add_f64_e32 v[24:25], v[114:115], v[24:25]
	v_add_f64_e32 v[14:15], v[50:51], v[14:15]
	v_add_f64_e32 v[114:115], v[122:123], v[48:49]
	v_add_f64_e32 v[28:29], v[118:119], v[76:77]
	v_add_f64_e32 v[50:51], v[162:163], v[80:81]
	v_add_f64_e32 v[6:7], v[20:21], v[6:7]
	v_add_f64_e32 v[18:19], v[96:97], v[18:19]
	v_add_f64_e32 v[10:11], v[94:95], v[10:11]
	v_add_f64_e32 v[22:23], v[110:111], v[22:23]
	v_add_nc_u32_e32 v94, 0x1c00, v187
	v_add_f64_e32 v[122:123], v[92:93], v[0:1]
	v_add_nc_u32_e32 v92, 0x1800, v187
	v_add_nc_u32_e32 v93, 0xc00, v187
	v_add_f64_e32 v[110:111], v[112:113], v[26:27]
	v_add_f64_e32 v[4:5], v[4:5], v[78:79]
	;; [unrolled: 1-line block ×4, first 2 shown]
	v_add_nc_u32_e32 v102, 0x1000, v187
	v_add_f64_e32 v[112:113], v[120:121], v[28:29]
	v_add_f64_e32 v[116:117], v[124:125], v[50:51]
	;; [unrolled: 1-line block ×6, first 2 shown]
	v_add_nc_u32_e32 v103, 0x800, v187
	v_add_f64_e32 v[120:121], v[4:5], v[2:3]
	ds_load_2addr_b64 v[0:3], v187 offset1:208
	ds_load_b64 v[78:79], v194
	ds_load_b64 v[76:77], v152
	;; [unrolled: 1-line block ×5, first 2 shown]
	ds_load_2addr_b64 v[8:11], v102 offset0:60 offset1:112
	ds_load_2addr_b64 v[24:27], v92 offset0:12 offset1:64
	;; [unrolled: 1-line block ×7, first 2 shown]
	global_wb scope:SCOPE_SE
	s_wait_dscnt 0x0
	s_barrier_signal -1
	s_barrier_wait -1
	global_inv scope:SCOPE_SE
	ds_store_2addr_b64 v89, v[97:98], v[110:111] offset0:8 offset1:12
	ds_store_2addr_b64 v89, v[112:113], v[114:115] offset0:16 offset1:20
	ds_store_2addr_b64 v89, v[116:117], v[118:119] offset0:24 offset1:28
	ds_store_2addr_b64 v89, v[108:109], v[106:107] offset0:32 offset1:36
	ds_store_2addr_b64 v89, v[104:105], v[99:100] offset0:40 offset1:44
	ds_store_2addr_b64 v89, v[120:121], v[95:96] offset1:4
	ds_store_b64 v89, v[122:123] offset:384
	s_and_saveexec_b32 s33, s0
	s_cbranch_execz .LBB0_35
; %bb.34:
	v_add_f64_e32 v[95:96], v[160:161], v[90:91]
	v_add_f64_e32 v[89:90], v[90:91], v[34:35]
	s_mov_b32 s0, 0xe00740e9
	s_mov_b32 s34, 0x1ea71119
	;; [unrolled: 1-line block ×11, first 2 shown]
	v_add_f64_e64 v[82:83], v[86:87], -v[82:83]
	s_mov_b32 s45, 0xbfef11f4
	s_mov_b32 s4, 0x4267c47c
	;; [unrolled: 1-line block ×10, first 2 shown]
	s_wait_alu 0xfffe
	s_mov_b32 s20, s14
	s_mov_b32 s23, 0x3fedeba7
	;; [unrolled: 1-line block ×8, first 2 shown]
	v_add_f64_e64 v[54:55], v[66:67], -v[54:55]
	s_wait_alu 0xfffe
	s_mov_b32 s42, s40
	s_mov_b32 s39, 0xbfe5384d
	;; [unrolled: 1-line block ×5, first 2 shown]
	v_add_f64_e32 v[95:96], v[95:96], v[84:85]
	v_add_f64_e32 v[84:85], v[84:85], v[32:33]
	v_mul_f64_e32 v[86:87], s[0:1], v[89:90]
	v_mul_f64_e32 v[97:98], s[34:35], v[89:90]
	;; [unrolled: 1-line block ×6, first 2 shown]
	s_mov_b32 s11, 0xbfddbe06
	s_mov_b32 s10, s4
	v_add_f64_e64 v[52:53], v[74:75], -v[52:53]
	v_add_f64_e64 v[64:65], v[64:65], -v[68:69]
	;; [unrolled: 1-line block ×4, first 2 shown]
	v_add_f64_e32 v[95:96], v[95:96], v[72:73]
	v_add_f64_e32 v[72:73], v[72:73], v[36:37]
	v_mul_f64_e32 v[66:67], s[34:35], v[84:85]
	v_mul_f64_e32 v[108:109], s[30:31], v[84:85]
	;; [unrolled: 1-line block ×6, first 2 shown]
	v_fma_f64 v[116:117], v[82:83], s[4:5], v[86:87]
	v_fma_f64 v[118:119], v[82:83], s[14:15], v[97:98]
	;; [unrolled: 1-line block ×8, first 2 shown]
	s_wait_alu 0xfffe
	v_fma_f64 v[89:90], v[82:83], s[42:43], v[89:90]
	v_fma_f64 v[106:107], v[82:83], s[38:39], v[106:107]
	;; [unrolled: 1-line block ×4, first 2 shown]
	v_add_f64_e32 v[95:96], v[95:96], v[70:71]
	v_add_f64_e32 v[70:71], v[70:71], v[42:43]
	v_mul_f64_e32 v[74:75], s[28:29], v[72:73]
	v_mul_f64_e32 v[86:87], s[44:45], v[72:73]
	;; [unrolled: 1-line block ×6, first 2 shown]
	v_fma_f64 v[134:135], v[54:55], s[14:15], v[66:67]
	v_fma_f64 v[66:67], v[54:55], s[20:21], v[66:67]
	;; [unrolled: 1-line block ×12, first 2 shown]
	v_add_f64_e32 v[84:85], v[160:161], v[116:117]
	v_add_f64_e32 v[116:117], v[160:161], v[118:119]
	;; [unrolled: 1-line block ×14, first 2 shown]
	v_mul_f64_e32 v[68:69], s[30:31], v[70:71]
	v_mul_f64_e32 v[126:127], s[36:37], v[70:71]
	;; [unrolled: 1-line block ×6, first 2 shown]
	v_fma_f64 v[168:169], v[52:53], s[12:13], v[74:75]
	v_fma_f64 v[74:75], v[52:53], s[18:19], v[74:75]
	;; [unrolled: 1-line block ×12, first 2 shown]
	v_add_f64_e32 v[72:73], v[134:135], v[84:85]
	v_add_f64_e32 v[84:85], v[136:137], v[116:117]
	;; [unrolled: 1-line block ×14, first 2 shown]
	v_mul_f64_e32 v[58:59], s[28:29], v[62:63]
	v_mul_f64_e32 v[82:83], s[34:35], v[62:63]
	;; [unrolled: 1-line block ×3, first 2 shown]
	v_fma_f64 v[110:111], v[64:65], s[22:23], v[68:69]
	v_fma_f64 v[68:69], v[64:65], s[24:25], v[68:69]
	;; [unrolled: 1-line block ×12, first 2 shown]
	v_add_f64_e32 v[70:71], v[168:169], v[72:73]
	v_add_f64_e32 v[72:73], v[170:171], v[84:85]
	;; [unrolled: 1-line block ×12, first 2 shown]
	v_mul_f64_e32 v[46:47], s[36:37], v[62:63]
	v_mul_f64_e32 v[40:41], s[44:45], v[44:45]
	;; [unrolled: 1-line block ×4, first 2 shown]
	v_fma_f64 v[128:129], v[56:57], s[18:19], v[58:59]
	v_fma_f64 v[58:59], v[56:57], s[12:13], v[58:59]
	;; [unrolled: 1-line block ×6, first 2 shown]
	v_add_f64_e32 v[52:53], v[64:65], v[52:53]
	v_add_f64_e32 v[54:55], v[138:139], v[54:55]
	;; [unrolled: 1-line block ×4, first 2 shown]
	v_mul_f64_e32 v[95:96], s[44:45], v[62:63]
	v_mul_f64_e32 v[62:63], s[30:31], v[62:63]
	v_fma_f64 v[118:119], v[56:57], s[26:27], v[46:47]
	v_fma_f64 v[46:47], v[56:57], s[38:39], v[46:47]
	v_add_f64_e32 v[54:55], v[106:107], v[54:55]
	v_add_f64_e32 v[42:43], v[60:61], v[42:43]
	;; [unrolled: 1-line block ×3, first 2 shown]
	v_mul_f64_e32 v[66:67], s[0:1], v[44:45]
	v_mul_f64_e32 v[74:75], s[36:37], v[44:45]
	v_mul_f64_e32 v[44:45], s[28:29], v[44:45]
	v_fma_f64 v[132:133], v[56:57], s[42:43], v[95:96]
	v_fma_f64 v[95:96], v[56:57], s[40:41], v[95:96]
	;; [unrolled: 1-line block ×4, first 2 shown]
	v_add_f64_e32 v[62:63], v[110:111], v[70:71]
	v_add_f64_e32 v[70:71], v[114:115], v[72:73]
	;; [unrolled: 1-line block ×8, first 2 shown]
	v_fma_f64 v[110:111], v[38:39], s[20:21], v[99:100]
	v_fma_f64 v[99:100], v[38:39], s[14:15], v[99:100]
	;; [unrolled: 1-line block ×4, first 2 shown]
	v_add_f64_e32 v[36:37], v[42:43], v[36:37]
	v_add_f64_e32 v[42:43], v[68:69], v[60:61]
	v_fma_f64 v[60:61], v[38:39], s[40:41], v[40:41]
	v_fma_f64 v[40:41], v[38:39], s[42:43], v[40:41]
	;; [unrolled: 1-line block ×8, first 2 shown]
	v_add_f64_e32 v[44:45], v[118:119], v[62:63]
	v_add_f64_e32 v[62:63], v[128:129], v[70:71]
	v_add_f64_e32 v[58:59], v[58:59], v[72:73]
	v_add_f64_e32 v[70:71], v[130:131], v[84:85]
	v_add_f64_e32 v[72:73], v[132:133], v[86:87]
	v_add_f64_e32 v[86:87], v[142:143], v[104:105]
	v_add_f64_e32 v[84:85], v[95:96], v[97:98]
	v_add_f64_e32 v[95:96], v[160:161], v[108:109]
	v_add_f64_e32 v[52:53], v[56:57], v[52:53]
	v_add_f64_e32 v[56:57], v[82:83], v[64:65]
	v_add_f64_e32 v[32:33], v[36:37], v[32:33]
	v_add_f64_e32 v[36:37], v[46:47], v[42:43]
	v_add_f64_e32 v[42:43], v[60:61], v[44:45]
	v_add_f64_e32 v[44:45], v[68:69], v[62:63]
	v_add_f64_e32 v[46:47], v[66:67], v[58:59]
	v_add_f64_e32 v[58:59], v[89:90], v[70:71]
	v_add_f64_e32 v[60:61], v[110:111], v[72:73]
	v_add_f64_e32 v[64:65], v[112:113], v[86:87]
	v_add_f64_e32 v[62:63], v[99:100], v[84:85]
	v_add_f64_e32 v[66:67], v[116:117], v[95:96]
	v_add_f64_e32 v[38:39], v[38:39], v[52:53]
	v_add_f64_e32 v[52:53], v[114:115], v[54:55]
	v_add_f64_e32 v[54:55], v[74:75], v[56:57]
	v_add_f64_e32 v[32:33], v[32:33], v[34:35]
	v_add_f64_e32 v[34:35], v[40:41], v[36:37]
	v_mul_lo_u32 v36, v88, 52
	s_delay_alu instid0(VALU_DEP_1) | instskip(NEXT) | instid1(VALU_DEP_1)
	v_or_b32_e32 v36, v36, v156
	v_lshl_add_u32 v36, v36, 3, 0
	ds_store_2addr_b64 v36, v[44:45], v[58:59] offset0:8 offset1:12
	ds_store_2addr_b64 v36, v[60:61], v[64:65] offset0:16 offset1:20
	;; [unrolled: 1-line block ×5, first 2 shown]
	ds_store_2addr_b64 v36, v[32:33], v[42:43] offset1:4
	ds_store_b64 v36, v[34:35] offset:384
.LBB0_35:
	s_or_b32 exec_lo, exec_lo, s33
	v_and_b32_e32 v32, 0xff, v149
	v_mul_u32_u24_e32 v33, 6, v186
	global_wb scope:SCOPE_SE
	s_wait_dscnt 0x0
	s_barrier_signal -1
	s_barrier_wait -1
	v_mul_lo_u16 v32, 0x4f, v32
	v_lshlrev_b32_e32 v45, 4, v33
	global_inv scope:SCOPE_SE
	s_mov_b32 s4, 0x37e14327
	s_mov_b32 s0, 0x36b3c0b5
	v_lshrrev_b16 v32, 12, v32
	s_clause 0x3
	global_load_b128 v[33:36], v45, s[8:9] offset:816
	global_load_b128 v[37:40], v45, s[8:9] offset:800
	;; [unrolled: 1-line block ×4, first 2 shown]
	s_mov_b32 s10, 0xe976ee23
	s_mov_b32 s5, 0x3fe948f6
	v_mul_lo_u16 v32, v32, 52
	s_mov_b32 s1, 0x3fac98ee
	s_mov_b32 s11, 0x3fe11646
	;; [unrolled: 1-line block ×4, first 2 shown]
	v_sub_nc_u16 v32, v149, v32
	s_mov_b32 s18, 0xaaaaaaaa
	s_mov_b32 s22, 0x5476071b
	;; [unrolled: 1-line block ×4, first 2 shown]
	v_and_b32_e32 v32, 0xff, v32
	s_mov_b32 s23, 0x3fe77f67
	s_mov_b32 s21, 0xbfe77f67
	;; [unrolled: 1-line block ×3, first 2 shown]
	s_wait_alu 0xfffe
	s_mov_b32 s20, s22
	v_mul_u32_u24_e32 v46, 6, v32
	s_mov_b32 s25, 0x3fd5d0dc
	s_mov_b32 s24, s26
	;; [unrolled: 1-line block ×4, first 2 shown]
	v_lshlrev_b32_e32 v46, 4, v46
	s_clause 0x7
	global_load_b128 v[56:59], v46, s[8:9] offset:800
	global_load_b128 v[60:63], v46, s[8:9] offset:816
	;; [unrolled: 1-line block ×8, first 2 shown]
	ds_load_b64 v[45:46], v191
	ds_load_b64 v[90:91], v194
	ds_load_2addr_b64 v[104:107], v92 offset0:116 offset1:168
	ds_load_2addr_b64 v[108:111], v92 offset0:12 offset1:64
	ds_load_2addr_b64 v[112:115], v187 offset1:208
	ds_load_2addr_b64 v[116:119], v103 offset0:4 offset1:108
	ds_load_2addr_b64 v[120:123], v94 offset0:92 offset1:144
	;; [unrolled: 1-line block ×3, first 2 shown]
	ds_load_b64 v[93:94], v152
	ds_load_b64 v[99:100], v255
	ds_load_2addr_b64 v[128:131], v102 offset0:60 offset1:112
	ds_load_2addr_b64 v[132:135], v102 offset0:164 offset1:216
	ds_load_b64 v[176:177], v188
	global_wb scope:SCOPE_SE
	s_wait_loadcnt_dscnt 0x0
	s_barrier_signal -1
	s_barrier_wait -1
	global_inv scope:SCOPE_SE
	v_mul_f64_e32 v[138:139], v[90:91], v[35:36]
	v_mul_f64_e32 v[136:137], v[45:46], v[39:40]
	;; [unrolled: 1-line block ×31, first 2 shown]
	v_fma_f64 v[78:79], v[78:79], v[33:34], v[138:139]
	v_fma_f64 v[80:81], v[80:81], v[37:38], v[136:137]
	;; [unrolled: 1-line block ×4, first 2 shown]
	v_mul_f64_e32 v[84:85], v[4:5], v[84:85]
	v_fma_f64 v[2:3], v[2:3], v[37:38], v[160:161]
	v_fma_f64 v[22:23], v[22:23], v[33:34], v[162:163]
	;; [unrolled: 1-line block ×4, first 2 shown]
	v_mul_f64_e32 v[136:137], v[128:129], v[88:89]
	v_mul_f64_e32 v[88:89], v[8:9], v[88:89]
	;; [unrolled: 1-line block ×4, first 2 shown]
	v_fma_f64 v[45:46], v[45:46], v[37:38], -v[178:179]
	v_fma_f64 v[90:91], v[90:91], v[33:34], -v[180:181]
	;; [unrolled: 1-line block ×8, first 2 shown]
	v_fma_f64 v[20:21], v[20:21], v[56:57], v[168:169]
	v_fma_f64 v[12:13], v[12:13], v[60:61], v[170:171]
	v_fma_f64 v[30:31], v[30:31], v[64:65], v[172:173]
	v_fma_f64 v[16:17], v[16:17], v[68:69], v[174:175]
	v_fma_f64 v[76:77], v[76:77], v[72:73], v[189:190]
	v_fma_f64 v[93:94], v[93:94], v[72:73], -v[192:193]
	v_fma_f64 v[10:11], v[10:11], v[82:83], v[195:196]
	v_fma_f64 v[130:131], v[130:131], v[82:83], -v[197:198]
	v_fma_f64 v[41:42], v[116:117], v[56:57], -v[58:59]
	;; [unrolled: 1-line block ×5, first 2 shown]
	v_fma_f64 v[14:15], v[14:15], v[72:73], v[199:200]
	v_fma_f64 v[56:57], v[126:127], v[72:73], -v[74:75]
	v_fma_f64 v[4:5], v[4:5], v[82:83], v[201:202]
	v_add_f64_e32 v[58:59], v[80:81], v[18:19]
	v_add_f64_e32 v[60:61], v[78:79], v[24:25]
	v_fma_f64 v[62:63], v[132:133], v[82:83], -v[84:85]
	v_add_f64_e64 v[24:25], v[78:79], -v[24:25]
	v_add_f64_e64 v[18:19], v[80:81], -v[18:19]
	v_add_f64_e32 v[66:67], v[2:3], v[28:29]
	v_add_f64_e32 v[68:69], v[22:23], v[26:27]
	v_fma_f64 v[8:9], v[8:9], v[86:87], v[136:137]
	v_fma_f64 v[64:65], v[128:129], v[86:87], -v[88:89]
	v_fma_f64 v[6:7], v[6:7], v[95:96], v[138:139]
	v_fma_f64 v[70:71], v[134:135], v[95:96], -v[97:98]
	v_add_f64_e64 v[22:23], v[22:23], -v[26:27]
	v_add_f64_e64 v[2:3], v[2:3], -v[28:29]
	v_add_f64_e32 v[84:85], v[90:91], v[108:109]
	v_add_f64_e32 v[82:83], v[45:46], v[106:107]
	v_add_f64_e64 v[78:79], v[90:91], -v[108:109]
	v_add_f64_e64 v[45:46], v[45:46], -v[106:107]
	v_add_f64_e32 v[90:91], v[33:34], v[35:36]
	v_add_f64_e32 v[80:81], v[37:38], v[39:40]
	;; [unrolled: 4-line block ×3, first 2 shown]
	v_add_f64_e64 v[12:13], v[12:13], -v[16:17]
	v_add_f64_e32 v[86:87], v[76:77], v[10:11]
	v_add_f64_e32 v[88:89], v[93:94], v[130:131]
	v_add_f64_e64 v[10:11], v[10:11], -v[76:77]
	v_add_f64_e64 v[76:77], v[130:131], -v[93:94]
	v_add_f64_e32 v[93:94], v[41:42], v[52:53]
	v_add_f64_e32 v[95:96], v[43:44], v[54:55]
	v_add_f64_e64 v[43:44], v[43:44], -v[54:55]
	v_add_f64_e64 v[26:27], v[41:42], -v[52:53]
	v_add_f64_e32 v[104:105], v[14:15], v[4:5]
	v_add_f64_e64 v[4:5], v[4:5], -v[14:15]
	v_add_f64_e64 v[14:15], v[20:21], -v[30:31]
	v_add_f64_e32 v[97:98], v[60:61], v[58:59]
	v_add_f64_e64 v[35:36], v[62:63], -v[56:57]
	v_add_f64_e32 v[39:40], v[56:57], v[62:63]
	;; [unrolled: 2-line block ×7, first 2 shown]
	v_add_f64_e64 v[114:115], v[90:91], -v[80:81]
	v_add_f64_e64 v[116:117], v[33:34], -v[37:38]
	v_add_f64_e32 v[41:42], v[74:75], v[72:73]
	v_add_f64_e64 v[30:31], v[58:59], -v[86:87]
	v_add_f64_e64 v[58:59], v[86:87], -v[60:61]
	;; [unrolled: 1-line block ×4, first 2 shown]
	v_add_f64_e32 v[70:71], v[76:77], v[78:79]
	v_add_f64_e32 v[108:109], v[95:96], v[93:94]
	v_add_f64_e64 v[78:79], v[78:79], -v[45:46]
	v_add_f64_e32 v[64:65], v[10:11], v[24:25]
	v_add_f64_e64 v[66:67], v[66:67], -v[104:105]
	v_add_f64_e64 v[68:69], v[104:105], -v[68:69]
	v_add_f64_e64 v[120:121], v[43:44], -v[26:27]
	v_add_f64_e64 v[52:53], v[82:83], -v[88:89]
	v_add_f64_e32 v[86:87], v[86:87], v[97:98]
	v_add_f64_e64 v[97:98], v[35:36], -v[33:34]
	v_add_f64_e64 v[82:83], v[10:11], -v[24:25]
	v_add_f64_e64 v[76:77], v[45:46], -v[76:77]
	;; [unrolled: 5-line block ×3, first 2 shown]
	v_add_f64_e64 v[118:119], v[62:63], -v[43:44]
	v_add_f64_e32 v[122:123], v[4:5], v[22:23]
	v_add_f64_e32 v[33:34], v[35:36], v[33:34]
	v_add_f64_e64 v[124:125], v[4:5], -v[22:23]
	v_add_f64_e64 v[22:23], v[22:23], -v[2:3]
	;; [unrolled: 1-line block ×3, first 2 shown]
	v_add_f64_e32 v[126:127], v[6:7], v[12:13]
	v_add_f64_e32 v[43:44], v[62:63], v[43:44]
	v_add_f64_e64 v[128:129], v[6:7], -v[12:13]
	v_add_f64_e32 v[8:9], v[88:89], v[8:9]
	v_add_f64_e64 v[12:13], v[12:13], -v[14:15]
	;; [unrolled: 2-line block ×3, first 2 shown]
	v_add_f64_e64 v[35:36], v[37:38], -v[35:36]
	v_add_f64_e32 v[41:42], v[54:55], v[41:42]
	v_add_f64_e64 v[54:55], v[54:55], -v[74:75]
	v_add_f64_e64 v[74:75], v[95:96], -v[93:94]
	;; [unrolled: 1-line block ×4, first 2 shown]
	v_mul_f64_e32 v[30:31], s[4:5], v[30:31]
	v_mul_f64_e32 v[88:89], s[0:1], v[58:59]
	;; [unrolled: 1-line block ×3, first 2 shown]
	v_add_f64_e32 v[16:17], v[16:17], v[108:109]
	v_mul_f64_e32 v[106:107], s[12:13], v[78:79]
	v_add_f64_e32 v[18:19], v[64:65], v[18:19]
	v_mul_f64_e32 v[66:67], s[4:5], v[66:67]
	v_mul_f64_e32 v[64:65], s[12:13], v[116:117]
	;; [unrolled: 1-line block ×3, first 2 shown]
	v_add_f64_e64 v[62:63], v[26:27], -v[62:63]
	v_add_f64_e32 v[0:1], v[0:1], v[86:87]
	v_mul_f64_e32 v[97:98], s[10:11], v[97:98]
	v_add_f64_e32 v[45:46], v[70:71], v[45:46]
	v_mul_f64_e32 v[130:131], s[12:13], v[120:121]
	v_add_f64_e64 v[4:5], v[2:3], -v[4:5]
	v_add_f64_e32 v[50:51], v[50:51], v[56:57]
	v_mul_f64_e32 v[52:53], s[4:5], v[52:53]
	v_add_f64_e64 v[6:7], v[14:15], -v[6:7]
	v_mul_f64_e32 v[70:71], s[4:5], v[104:105]
	v_mul_f64_e32 v[104:105], s[10:11], v[118:119]
	;; [unrolled: 1-line block ×5, first 2 shown]
	v_add_f64_e32 v[2:3], v[122:123], v[2:3]
	v_add_f64_e32 v[33:34], v[33:34], v[37:38]
	v_mul_f64_e32 v[37:38], s[4:5], v[80:81]
	v_mul_f64_e32 v[80:81], s[0:1], v[90:91]
	;; [unrolled: 1-line block ×4, first 2 shown]
	v_add_f64_e32 v[14:15], v[126:127], v[14:15]
	v_add_f64_e32 v[26:27], v[43:44], v[26:27]
	v_mul_f64_e32 v[126:127], s[10:11], v[128:129]
	v_add_f64_e32 v[112:113], v[112:113], v[8:9]
	v_add_f64_e32 v[47:48], v[48:49], v[41:42]
	v_mul_f64_e32 v[132:133], s[0:1], v[54:55]
	v_mul_f64_e32 v[128:129], s[12:13], v[12:13]
	;; [unrolled: 1-line block ×4, first 2 shown]
	v_fma_f64 v[58:59], v[58:59], s[0:1], v[30:31]
	v_fma_f64 v[88:89], v[20:21], s[22:23], -v[88:89]
	v_add_f64_e32 v[136:137], v[176:177], v[39:40]
	s_wait_alu 0xfffe
	v_fma_f64 v[20:21], v[20:21], s[20:21], -v[30:31]
	v_fma_f64 v[30:31], v[76:77], s[26:27], v[84:85]
	v_add_f64_e32 v[138:139], v[99:100], v[16:17]
	v_fma_f64 v[78:79], v[78:79], s[12:13], -v[84:85]
	v_fma_f64 v[76:77], v[76:77], s[24:25], -v[106:107]
	v_fma_f64 v[68:69], v[68:69], s[0:1], v[66:67]
	v_lshl_add_u32 v49, v32, 3, 0
	v_fma_f64 v[84:85], v[86:87], s[18:19], v[0:1]
	v_fma_f64 v[99:100], v[35:36], s[26:27], v[97:98]
	v_fma_f64 v[97:98], v[116:117], s[12:13], -v[97:98]
	v_fma_f64 v[35:36], v[35:36], s[24:25], -v[64:65]
	;; [unrolled: 1-line block ×3, first 2 shown]
	v_fma_f64 v[56:57], v[56:57], s[18:19], v[50:51]
	v_fma_f64 v[86:87], v[110:111], s[22:23], -v[108:109]
	v_fma_f64 v[60:61], v[60:61], s[0:1], v[52:53]
	v_fma_f64 v[54:55], v[54:55], s[0:1], v[70:71]
	;; [unrolled: 1-line block ×3, first 2 shown]
	v_fma_f64 v[104:105], v[120:121], s[12:13], -v[104:105]
	v_fma_f64 v[62:63], v[62:63], s[24:25], -v[130:131]
	;; [unrolled: 1-line block ×5, first 2 shown]
	v_fma_f64 v[52:53], v[10:11], s[26:27], v[82:83]
	v_fma_f64 v[24:25], v[24:25], s[12:13], -v[82:83]
	v_fma_f64 v[10:11], v[10:11], s[24:25], -v[134:135]
	v_fma_f64 v[82:83], v[90:91], s[0:1], v[37:38]
	v_fma_f64 v[80:81], v[114:115], s[22:23], -v[80:81]
	v_fma_f64 v[37:38], v[114:115], s[20:21], -v[37:38]
	v_fma_f64 v[90:91], v[4:5], s[26:27], v[122:123]
	v_fma_f64 v[22:23], v[22:23], s[12:13], -v[122:123]
	v_fma_f64 v[41:42], v[41:42], s[18:19], v[47:48]
	v_fma_f64 v[72:73], v[72:73], s[22:23], -v[132:133]
	v_fma_f64 v[4:5], v[4:5], s[24:25], -v[124:125]
	v_fma_f64 v[108:109], v[6:7], s[26:27], v[126:127]
	v_fma_f64 v[8:9], v[8:9], s[18:19], v[112:113]
	;; [unrolled: 1-line block ×3, first 2 shown]
	v_fma_f64 v[93:94], v[74:75], s[22:23], -v[93:94]
	v_fma_f64 v[12:13], v[12:13], s[12:13], -v[126:127]
	;; [unrolled: 1-line block ×3, first 2 shown]
	v_fma_f64 v[39:40], v[39:40], s[18:19], v[136:137]
	v_fma_f64 v[43:44], v[74:75], s[20:21], -v[43:44]
	v_fma_f64 v[30:31], v[45:46], s[14:15], v[30:31]
	v_fma_f64 v[16:17], v[16:17], s[18:19], v[138:139]
	;; [unrolled: 1-line block ×4, first 2 shown]
	v_add_f64_e32 v[58:59], v[58:59], v[84:85]
	v_add_f64_e32 v[20:21], v[20:21], v[84:85]
	;; [unrolled: 1-line block ×3, first 2 shown]
	v_fma_f64 v[78:79], v[33:34], s[14:15], v[99:100]
	v_fma_f64 v[84:85], v[33:34], s[14:15], v[97:98]
	;; [unrolled: 1-line block ×3, first 2 shown]
	v_add_f64_e32 v[35:36], v[68:69], v[56:57]
	v_add_f64_e32 v[64:65], v[64:65], v[56:57]
	;; [unrolled: 1-line block ×3, first 2 shown]
	v_fma_f64 v[66:67], v[26:27], s[14:15], v[66:67]
	v_fma_f64 v[68:69], v[26:27], s[14:15], v[104:105]
	;; [unrolled: 1-line block ×3, first 2 shown]
	v_add_nc_u32_e32 v120, 0x400, v187
	v_add_nc_u32_e32 v121, 0x1400, v49
	v_add_nc_u32_e32 v122, 0x1800, v49
	v_fma_f64 v[52:53], v[18:19], s[14:15], v[52:53]
	v_fma_f64 v[24:25], v[18:19], s[14:15], v[24:25]
	;; [unrolled: 1-line block ×5, first 2 shown]
	v_add_f64_e32 v[54:55], v[54:55], v[41:42]
	v_add_f64_e32 v[62:63], v[70:71], v[41:42]
	;; [unrolled: 1-line block ×3, first 2 shown]
	v_fma_f64 v[2:3], v[2:3], s[14:15], v[4:5]
	v_fma_f64 v[4:5], v[14:15], s[14:15], v[108:109]
	v_add_f64_e32 v[60:61], v[60:61], v[8:9]
	v_add_f64_e32 v[28:29], v[28:29], v[8:9]
	;; [unrolled: 1-line block ×3, first 2 shown]
	v_fma_f64 v[12:13], v[14:15], s[14:15], v[12:13]
	v_fma_f64 v[6:7], v[14:15], s[14:15], v[6:7]
	v_add_f64_e32 v[14:15], v[82:83], v[39:40]
	v_add_f64_e32 v[70:71], v[80:81], v[39:40]
	;; [unrolled: 1-line block ×8, first 2 shown]
	v_add_f64_e64 v[86:87], v[76:77], -v[74:75]
	v_add_f64_e32 v[74:75], v[74:75], v[76:77]
	v_add_f64_e64 v[20:21], v[20:21], -v[45:46]
	v_add_f64_e64 v[30:31], v[58:59], -v[30:31]
	v_add_f64_e32 v[45:46], v[78:79], v[35:36]
	v_add_f64_e32 v[58:59], v[33:34], v[64:65]
	v_add_f64_e64 v[76:77], v[56:57], -v[84:85]
	v_add_f64_e32 v[56:57], v[84:85], v[56:57]
	v_add_f64_e64 v[32:33], v[64:65], -v[33:34]
	v_add_f64_e64 v[34:35], v[35:36], -v[78:79]
	v_add_nc_u32_e32 v80, 0x1400, v187
	v_add_f64_e32 v[64:65], v[66:67], v[54:55]
	v_add_f64_e32 v[78:79], v[26:27], v[62:63]
	v_add_f64_e64 v[83:84], v[41:42], -v[68:69]
	v_add_f64_e32 v[41:42], v[68:69], v[41:42]
	v_add_f64_e64 v[26:27], v[62:63], -v[26:27]
	v_add_f64_e64 v[54:55], v[54:55], -v[66:67]
	;; [unrolled: 1-line block ×4, first 2 shown]
	v_add_f64_e32 v[68:69], v[24:25], v[8:9]
	v_add_f64_e64 v[24:25], v[8:9], -v[24:25]
	v_add_f64_e32 v[28:29], v[10:11], v[28:29]
	v_add_f64_e32 v[52:53], v[52:53], v[60:61]
	v_add_f64_e64 v[60:61], v[14:15], -v[18:19]
	v_add_f64_e64 v[104:105], v[37:38], -v[2:3]
	v_add_f64_e32 v[106:107], v[22:23], v[70:71]
	v_add_f64_e64 v[70:71], v[70:71], -v[22:23]
	v_add_f64_e32 v[36:37], v[2:3], v[37:38]
	v_add_f64_e32 v[108:109], v[18:19], v[14:15]
	v_add_f64_e64 v[110:111], v[39:40], -v[4:5]
	v_add_f64_e64 v[114:115], v[16:17], -v[6:7]
	v_add_f64_e32 v[116:117], v[12:13], v[72:73]
	v_add_f64_e64 v[72:73], v[72:73], -v[12:13]
	v_add_f64_e32 v[118:119], v[6:7], v[16:17]
	v_add_f64_e32 v[38:39], v[4:5], v[39:40]
	ds_store_2addr_b64 v187, v[0:1], v[43:44] offset1:52
	ds_store_2addr_b64 v187, v[81:82], v[86:87] offset0:104 offset1:156
	ds_store_2addr_b64 v120, v[74:75], v[20:21] offset0:80 offset1:132
	;; [unrolled: 1-line block ×9, first 2 shown]
	ds_store_b64 v49, v[54:55] offset:8320
	global_wb scope:SCOPE_SE
	s_wait_dscnt 0x0
	s_barrier_signal -1
	s_barrier_wait -1
	global_inv scope:SCOPE_SE
	ds_load_b64 v[90:91], v187
	ds_load_b64 v[98:99], v158
	ds_load_2addr_b64 v[16:19], v80 offset0:88 offset1:140
	ds_load_2addr_b64 v[12:15], v103 offset0:160 offset1:212
	ds_load_b64 v[88:89], v255
	ds_load_2addr_b64 v[4:7], v92 offset0:64 offset1:116
	ds_load_2addr_b64 v[0:3], v102 offset0:8 offset1:60
	;; [unrolled: 1-line block ×4, first 2 shown]
	ds_load_b64 v[94:95], v191
	s_clause 0x1
	scratch_load_b32 v81, off, off
	scratch_load_b32 v82, off, off offset:4
	s_wait_loadcnt 0x1
	ds_load_b64 v[92:93], v81
	s_wait_loadcnt 0x0
	ds_load_b64 v[84:85], v82
	ds_load_b64 v[86:87], v194
	;; [unrolled: 1-line block ×3, first 2 shown]
	ds_load_b64 v[100:101], v187 offset:8320
	global_wb scope:SCOPE_SE
	s_wait_dscnt 0x0
	s_barrier_signal -1
	s_barrier_wait -1
	global_inv scope:SCOPE_SE
	ds_store_2addr_b64 v187, v[112:113], v[62:63] offset1:52
	ds_store_2addr_b64 v187, v[66:67], v[68:69] offset0:104 offset1:156
	ds_store_2addr_b64 v120, v[24:25], v[28:29] offset0:80 offset1:132
	;; [unrolled: 1-line block ×9, first 2 shown]
	ds_store_b64 v49, v[38:39] offset:8320
	global_wb scope:SCOPE_SE
	s_wait_dscnt 0x0
	s_barrier_signal -1
	s_barrier_wait -1
	global_inv scope:SCOPE_SE
	s_and_saveexec_b32 s0, vcc_lo
	s_cbranch_execz .LBB0_37
; %bb.36:
	v_mov_b32_e32 v152, 0
	v_lshlrev_b64_e32 v[142:143], 4, v[144:145]
	v_dual_mov_b32 v118, v158 :: v_dual_add_nc_u32 v145, 0x68, v186
	v_mad_co_u64_u32 v[140:141], null, s2, v146, 0
	s_delay_alu instid0(VALU_DEP_4) | instskip(SKIP_3) | instid1(VALU_DEP_4)
	v_dual_mov_b32 v149, v152 :: v_dual_mov_b32 v160, v152
	v_mov_b32_e32 v158, v152
	v_mov_b32_e32 v156, v152
	;; [unrolled: 1-line block ×3, first 2 shown]
	v_lshlrev_b64_e32 v[62:63], 4, v[148:149]
	v_lshlrev_b64_e32 v[24:25], 4, v[159:160]
	v_add_nc_u32_e32 v149, 0x9c, v186
	v_lshlrev_b64_e32 v[26:27], 4, v[157:158]
	v_lshlrev_b64_e32 v[36:37], 4, v[155:156]
	;; [unrolled: 1-line block ×3, first 2 shown]
	v_mul_lo_u32 v148, s3, v146
	v_add_co_u32 v48, vcc_lo, s8, v24
	s_wait_alu 0xfffd
	v_add_co_ci_u32_e32 v49, vcc_lo, s9, v25, vcc_lo
	v_add_co_u32 v32, vcc_lo, s8, v26
	s_wait_alu 0xfffd
	v_add_co_ci_u32_e32 v33, vcc_lo, s9, v27, vcc_lo
	;; [unrolled: 3-line block ×3, first 2 shown]
	v_lshlrev_b64_e32 v[36:37], 4, v[151:152]
	v_mov_b32_e32 v151, v152
	v_add_co_u32 v60, vcc_lo, s8, v38
	s_wait_alu 0xfffd
	v_add_co_ci_u32_e32 v61, vcc_lo, s9, v39, vcc_lo
	s_delay_alu instid0(VALU_DEP_4)
	v_add_co_u32 v50, vcc_lo, s8, v36
	v_lshlrev_b64_e32 v[64:65], 4, v[150:151]
	s_wait_alu 0xfffd
	v_add_co_ci_u32_e32 v51, vcc_lo, s9, v37, vcc_lo
	v_add_co_u32 v66, vcc_lo, s8, v62
	s_wait_alu 0xfffd
	v_add_co_ci_u32_e32 v67, vcc_lo, s9, v63, vcc_lo
	v_add_co_u32 v64, vcc_lo, s8, v64
	s_wait_alu 0xfffd
	v_add_co_ci_u32_e32 v65, vcc_lo, s9, v65, vcc_lo
	s_clause 0xd
	global_load_b128 v[24:27], v[48:49], off offset:5792
	global_load_b128 v[28:31], v[32:33], off offset:5808
	;; [unrolled: 1-line block ×14, first 2 shown]
	v_lshrrev_b32_e32 v146, 2, v186
	v_add_nc_u32_e32 v144, 52, v186
	v_mul_lo_u32 v147, s2, v147
	v_add_nc_u32_e32 v150, 0xd0, v186
	v_add_nc_u32_e32 v152, 0x138, v186
	v_mul_hi_u32 v146, 0x5a05a05b, v146
	v_lshrrev_b32_e32 v153, 2, v144
	v_add_nc_u32_e32 v151, 0x104, v186
	v_lshrrev_b32_e32 v154, 2, v145
	v_lshrrev_b32_e32 v156, 2, v150
	v_add3_u32 v141, v141, v147, v148
	v_mul_hi_u32 v147, 0x5a05a05b, v153
	v_lshrrev_b32_e32 v158, 2, v152
	v_lshrrev_b32_e32 v146, 5, v146
	;; [unrolled: 1-line block ×4, first 2 shown]
	v_mul_hi_u32 v148, 0x5a05a05b, v154
	v_mul_hi_u32 v154, 0x5a05a05b, v156
	v_mul_u32_u24_e32 v146, 0x16c, v146
	v_lshrrev_b32_e32 v147, 5, v147
	v_mul_hi_u32 v156, 0x5a05a05b, v158
	v_mul_hi_u32 v153, 0x5a05a05b, v155
	;; [unrolled: 1-line block ×3, first 2 shown]
	v_sub_nc_u32_e32 v158, v186, v146
	v_mul_u32_u24_e32 v146, 0x16c, v147
	v_lshlrev_b64_e32 v[140:141], 4, v[140:141]
	v_lshrrev_b32_e32 v148, 5, v148
	v_lshrrev_b32_e32 v154, 5, v154
	;; [unrolled: 1-line block ×3, first 2 shown]
	v_sub_nc_u32_e32 v146, v144, v146
	v_lshrrev_b32_e32 v153, 5, v153
	v_lshrrev_b32_e32 v155, 5, v155
	v_add_co_u32 v140, vcc_lo, s6, v140
	s_delay_alu instid0(VALU_DEP_4) | instskip(NEXT) | instid1(VALU_DEP_4)
	v_mad_u32_u24 v186, 0x444, v147, v146
	v_mul_u32_u24_e32 v159, 0x16c, v153
	s_delay_alu instid0(VALU_DEP_4)
	v_mul_u32_u24_e32 v161, 0x16c, v155
	v_mul_u32_u24_e32 v162, 0x16c, v156
	s_wait_alu 0xfffd
	v_add_co_ci_u32_e32 v141, vcc_lo, s7, v141, vcc_lo
	v_add_nc_u32_e32 v193, 0x2d8, v186
	v_add_nc_u32_e32 v183, 0x16c, v158
	v_mul_u32_u24_e32 v157, 0x16c, v148
	v_mul_u32_u24_e32 v160, 0x16c, v154
	v_sub_nc_u32_e32 v149, v149, v159
	v_sub_nc_u32_e32 v151, v151, v161
	;; [unrolled: 1-line block ×3, first 2 shown]
	v_mad_co_u64_u32 v[161:162], null, s16, v193, 0
	v_add_nc_u32_e32 v185, 0x2d8, v158
	v_add_co_u32 v211, vcc_lo, v140, v142
	s_wait_alu 0xfffd
	v_add_co_ci_u32_e32 v212, vcc_lo, v141, v143, vcc_lo
	v_mad_co_u64_u32 v[140:141], null, s16, v158, 0
	v_mad_co_u64_u32 v[142:143], null, s16, v183, 0
	ds_load_b64 v[104:105], v194
	ds_load_b64 v[102:103], v82
	;; [unrolled: 1-line block ×4, first 2 shown]
	ds_load_2addr_b64 v[80:83], v80 offset0:88 offset1:140
	ds_load_b64 v[110:111], v255
	ds_load_b64 v[112:113], v188
	ds_load_b64 v[116:117], v187 offset:8320
	ds_load_b64 v[114:115], v187
	ds_load_b64 v[118:119], v118
	v_sub_nc_u32_e32 v157, v145, v157
	v_sub_nc_u32_e32 v150, v150, v160
	v_mad_co_u64_u32 v[144:145], null, s16, v185, 0
	v_mad_u32_u24 v188, 0x444, v153, v149
	v_mad_u32_u24 v190, 0x444, v155, v151
	s_delay_alu instid0(VALU_DEP_4) | instskip(SKIP_1) | instid1(VALU_DEP_4)
	v_mad_u32_u24 v189, 0x444, v154, v150
	v_mad_co_u64_u32 v[146:147], null, s16, v186, 0
	v_mad_co_u64_u32 v[150:151], null, s16, v188, 0
	s_delay_alu instid0(VALU_DEP_4)
	v_mad_co_u64_u32 v[154:155], null, s16, v190, 0
	v_add_nc_u32_e32 v128, 0x1000, v187
	v_mad_co_u64_u32 v[158:159], null, s17, v158, v[141:142]
	v_dual_mov_b32 v141, v143 :: v_dual_add_nc_u32 v132, 0x1800, v187
	v_dual_mov_b32 v143, v145 :: v_dual_add_nc_u32 v192, 0x16c, v186
	v_add_nc_u32_e32 v136, 0x800, v187
	v_mad_u32_u24 v187, 0x444, v148, v157
	v_mad_u32_u24 v191, 0x444, v156, v152
	v_mad_co_u64_u32 v[183:184], null, s17, v183, v[141:142]
	v_mad_co_u64_u32 v[184:185], null, s17, v185, v[143:144]
	v_mov_b32_e32 v143, v147
	v_mov_b32_e32 v147, v151
	;; [unrolled: 1-line block ×3, first 2 shown]
	v_mad_co_u64_u32 v[159:160], null, s16, v192, 0
	v_mad_co_u64_u32 v[148:149], null, s16, v187, 0
	;; [unrolled: 1-line block ×3, first 2 shown]
	v_add_nc_u32_e32 v198, 0x16c, v189
	v_mad_co_u64_u32 v[156:157], null, s16, v191, 0
	v_dual_mov_b32 v155, v160 :: v_dual_add_nc_u32 v194, 0x16c, v187
	v_dual_mov_b32 v141, v158 :: v_dual_add_nc_u32 v196, 0x16c, v188
	s_delay_alu instid0(VALU_DEP_4)
	v_mad_co_u64_u32 v[171:172], null, s16, v198, 0
	v_add_nc_u32_e32 v195, 0x2d8, v187
	v_mov_b32_e32 v145, v149
	v_add_nc_u32_e32 v197, 0x2d8, v188
	v_add_nc_u32_e32 v202, 0x16c, v191
	;; [unrolled: 1-line block ×3, first 2 shown]
	v_mad_co_u64_u32 v[167:168], null, s16, v196, 0
	v_mov_b32_e32 v149, v153
	v_mov_b32_e32 v153, v157
	v_mad_co_u64_u32 v[163:164], null, s16, v194, 0
	v_add_nc_u32_e32 v199, 0x2d8, v189
	v_add_nc_u32_e32 v200, 0x16c, v190
	v_mad_co_u64_u32 v[165:166], null, s16, v195, 0
	v_mad_co_u64_u32 v[157:158], null, s17, v186, v[143:144]
	;; [unrolled: 1-line block ×3, first 2 shown]
	v_add_nc_u32_e32 v201, 0x2d8, v190
	v_mad_co_u64_u32 v[186:187], null, s17, v188, v[147:148]
	v_mad_co_u64_u32 v[169:170], null, s16, v197, 0
	v_mad_co_u64_u32 v[181:182], null, s16, v213, 0
	v_mad_co_u64_u32 v[187:188], null, s17, v189, v[149:150]
	v_mov_b32_e32 v149, v172
	v_mad_co_u64_u32 v[179:180], null, s16, v202, 0
	v_mad_co_u64_u32 v[173:174], null, s16, v199, 0
	v_dual_mov_b32 v160, v164 :: v_dual_mov_b32 v147, v168
	v_mad_co_u64_u32 v[175:176], null, s16, v200, 0
	v_mad_co_u64_u32 v[177:178], null, s16, v201, 0
	ds_load_2addr_b64 v[120:123], v128 offset0:112 offset1:164
	ds_load_2addr_b64 v[124:127], v132 offset0:168 offset1:220
	;; [unrolled: 1-line block ×5, first 2 shown]
	v_mov_b32_e32 v158, v162
	v_mov_b32_e32 v162, v166
	v_mad_co_u64_u32 v[188:189], null, s17, v190, v[151:152]
	v_mad_co_u64_u32 v[189:190], null, s17, v191, v[153:154]
	v_mov_b32_e32 v168, v178
	v_dual_mov_b32 v164, v170 :: v_dual_mov_b32 v153, v180
	v_mov_b32_e32 v180, v182
	v_mad_co_u64_u32 v[190:191], null, s17, v194, v[160:161]
	v_mov_b32_e32 v143, v183
	v_mad_co_u64_u32 v[182:183], null, s17, v192, v[155:156]
	v_dual_mov_b32 v166, v174 :: v_dual_mov_b32 v151, v176
	v_mad_co_u64_u32 v[191:192], null, s17, v195, v[162:163]
	v_mov_b32_e32 v145, v184
	v_mad_co_u64_u32 v[183:184], null, s17, v193, v[158:159]
	v_mad_co_u64_u32 v[192:193], null, s17, v196, v[147:148]
	;; [unrolled: 1-line block ×5, first 2 shown]
	v_mov_b32_e32 v166, v191
	v_mov_b32_e32 v160, v182
	v_mad_co_u64_u32 v[196:197], null, s17, v200, v[151:152]
	v_mad_co_u64_u32 v[197:198], null, s17, v201, v[168:169]
	v_dual_mov_b32 v147, v157 :: v_dual_mov_b32 v168, v192
	v_dual_mov_b32 v149, v185 :: v_dual_mov_b32 v170, v193
	v_dual_mov_b32 v151, v186 :: v_dual_mov_b32 v172, v194
	v_dual_mov_b32 v155, v188 :: v_dual_mov_b32 v176, v196
	v_dual_mov_b32 v157, v189 :: v_dual_mov_b32 v178, v197
	v_mov_b32_e32 v162, v183
	v_mad_co_u64_u32 v[198:199], null, s17, v202, v[153:154]
	v_dual_mov_b32 v153, v187 :: v_dual_mov_b32 v174, v195
	v_mov_b32_e32 v164, v190
	v_lshlrev_b64_e32 v[140:141], 4, v[140:141]
	v_lshlrev_b64_e32 v[142:143], 4, v[142:143]
	;; [unrolled: 1-line block ×6, first 2 shown]
	v_add_co_u32 v140, vcc_lo, v211, v140
	s_wait_alu 0xfffd
	v_add_co_ci_u32_e32 v141, vcc_lo, v212, v141, vcc_lo
	v_add_co_u32 v142, vcc_lo, v211, v142
	s_wait_alu 0xfffd
	v_add_co_ci_u32_e32 v143, vcc_lo, v212, v143, vcc_lo
	;; [unrolled: 3-line block ×4, first 2 shown]
	v_lshlrev_b64_e32 v[152:153], 4, v[152:153]
	v_add_co_u32 v148, vcc_lo, v211, v148
	s_wait_alu 0xfffd
	v_add_co_ci_u32_e32 v149, vcc_lo, v212, v149, vcc_lo
	v_lshlrev_b64_e32 v[154:155], 4, v[154:155]
	v_add_co_u32 v150, vcc_lo, v211, v150
	s_wait_alu 0xfffd
	v_add_co_ci_u32_e32 v151, vcc_lo, v212, v151, vcc_lo
	;; [unrolled: 4-line block ×3, first 2 shown]
	v_lshlrev_b64_e32 v[160:161], 4, v[161:162]
	v_lshlrev_b64_e32 v[162:163], 4, v[163:164]
	;; [unrolled: 1-line block ×5, first 2 shown]
	s_mov_b32 s0, 0xe8584caa
	s_mov_b32 s1, 0xbfebb67a
	;; [unrolled: 1-line block ×3, first 2 shown]
	s_wait_alu 0xfffe
	s_mov_b32 s2, s0
	v_lshlrev_b64_e32 v[170:171], 4, v[171:172]
	v_lshlrev_b64_e32 v[172:173], 4, v[173:174]
	;; [unrolled: 1-line block ×4, first 2 shown]
	s_wait_loadcnt 0xd
	v_mul_f64_e32 v[186:187], v[2:3], v[26:27]
	s_wait_loadcnt 0xc
	v_mul_f64_e32 v[190:191], v[6:7], v[30:31]
	;; [unrolled: 2-line block ×5, first 2 shown]
	s_wait_dscnt 0x5
	v_mul_f64_e32 v[78:79], v[118:119], v[78:79]
	v_mul_f64_e32 v[74:75], v[80:81], v[74:75]
	;; [unrolled: 1-line block ×5, first 2 shown]
	s_wait_dscnt 0x0
	v_mul_f64_e32 v[54:55], v[136:137], v[54:55]
	v_mul_f64_e32 v[62:63], v[82:83], v[62:63]
	;; [unrolled: 1-line block ×5, first 2 shown]
	s_wait_loadcnt 0x1
	v_mul_f64_e32 v[207:208], v[20:21], v[70:71]
	v_mul_f64_e32 v[70:71], v[120:121], v[70:71]
	;; [unrolled: 1-line block ×9, first 2 shown]
	s_wait_loadcnt 0x0
	v_mul_f64_e32 v[209:210], v[10:11], v[66:67]
	v_mul_f64_e32 v[66:67], v[126:127], v[66:67]
	;; [unrolled: 1-line block ×4, first 2 shown]
	v_fma_f64 v[130:131], v[24:25], v[130:131], -v[186:187]
	v_fma_f64 v[134:135], v[28:29], v[134:135], -v[190:191]
	;; [unrolled: 1-line block ×5, first 2 shown]
	v_fma_f64 v[76:77], v[98:99], v[76:77], v[78:79]
	v_fma_f64 v[72:73], v[16:17], v[72:73], v[74:75]
	v_fma_f64 v[138:139], v[40:41], v[138:139], -v[194:195]
	v_fma_f64 v[136:137], v[52:53], v[136:137], -v[196:197]
	;; [unrolled: 1-line block ×3, first 2 shown]
	v_fma_f64 v[12:13], v[12:13], v[52:53], v[54:55]
	v_fma_f64 v[52:53], v[18:19], v[60:61], v[62:63]
	;; [unrolled: 1-line block ×4, first 2 shown]
	v_fma_f64 v[128:129], v[32:33], v[128:129], -v[188:189]
	v_fma_f64 v[18:19], v[68:69], v[120:121], -v[207:208]
	v_fma_f64 v[4:5], v[20:21], v[68:69], v[70:71]
	v_fma_f64 v[0:1], v[0:1], v[32:33], v[34:35]
	;; [unrolled: 1-line block ×3, first 2 shown]
	v_fma_f64 v[124:125], v[48:49], v[124:125], -v[199:200]
	v_fma_f64 v[2:3], v[2:3], v[24:25], v[26:27]
	v_fma_f64 v[8:9], v[8:9], v[48:49], v[50:51]
	v_fma_f64 v[74:75], v[44:45], v[116:117], -v[184:185]
	v_fma_f64 v[78:79], v[100:101], v[44:45], v[46:47]
	v_fma_f64 v[44:45], v[64:65], v[126:127], -v[209:210]
	;; [unrolled: 2-line block ×3, first 2 shown]
	v_fma_f64 v[22:23], v[22:23], v[56:57], v[58:59]
	v_add_co_u32 v98, vcc_lo, v211, v154
	s_wait_alu 0xfffd
	v_add_co_ci_u32_e32 v99, vcc_lo, v212, v155, vcc_lo
	v_add_co_u32 v100, vcc_lo, v211, v158
	s_wait_alu 0xfffd
	v_add_co_ci_u32_e32 v101, vcc_lo, v212, v159, vcc_lo
	;; [unrolled: 3-line block ×3, first 2 shown]
	v_add_co_u32 v120, vcc_lo, v211, v162
	v_add_f64_e32 v[28:29], v[118:119], v[80:81]
	s_wait_alu 0xfffd
	v_add_co_ci_u32_e32 v121, vcc_lo, v212, v163, vcc_lo
	v_add_f64_e32 v[30:31], v[76:77], v[72:73]
	v_add_f64_e32 v[24:25], v[138:139], v[132:133]
	;; [unrolled: 1-line block ×3, first 2 shown]
	v_add_co_u32 v122, vcc_lo, v211, v164
	v_add_f64_e32 v[32:33], v[12:13], v[52:53]
	v_add_f64_e32 v[34:35], v[14:15], v[36:37]
	v_add_f64_e32 v[10:11], v[128:129], v[134:135]
	s_wait_alu 0xfffd
	v_add_co_ci_u32_e32 v123, vcc_lo, v212, v165, vcc_lo
	v_add_co_u32 v126, vcc_lo, v211, v166
	v_add_f64_e32 v[42:43], v[0:1], v[20:21]
	v_add_f64_e32 v[6:7], v[130:131], v[124:125]
	;; [unrolled: 1-line block ×3, first 2 shown]
	s_wait_alu 0xfffd
	v_add_co_ci_u32_e32 v127, vcc_lo, v212, v167, vcc_lo
	v_add_f64_e32 v[46:47], v[18:19], v[44:45]
	v_add_f64_e32 v[54:55], v[4:5], v[64:65]
	;; [unrolled: 1-line block ×5, first 2 shown]
	v_add_f64_e64 v[62:63], v[0:1], -v[20:21]
	v_add_f64_e32 v[0:1], v[94:95], v[0:1]
	v_add_f64_e64 v[164:165], v[76:77], -v[72:73]
	v_add_f64_e32 v[166:167], v[114:115], v[118:119]
	v_add_f64_e32 v[76:77], v[90:91], v[76:77]
	;; [unrolled: 1-line block ×3, first 2 shown]
	v_add_f64_e64 v[118:119], v[118:119], -v[80:81]
	v_add_f64_e32 v[160:161], v[112:113], v[136:137]
	v_add_f64_e32 v[162:163], v[96:97], v[12:13]
	;; [unrolled: 1-line block ×3, first 2 shown]
	v_add_f64_e64 v[158:159], v[12:13], -v[52:53]
	v_add_f64_e32 v[154:155], v[88:89], v[14:15]
	v_add_f64_e64 v[68:69], v[14:15], -v[36:37]
	v_fma_f64 v[28:29], v[28:29], -0.5, v[114:115]
	v_add_f64_e64 v[114:115], v[136:137], -v[82:83]
	v_add_f64_e64 v[136:137], v[138:139], -v[132:133]
	v_fma_f64 v[90:91], v[30:31], -0.5, v[90:91]
	v_fma_f64 v[24:25], v[24:25], -0.5, v[110:111]
	;; [unrolled: 1-line block ×3, first 2 shown]
	v_add_f64_e32 v[66:67], v[108:109], v[128:129]
	v_add_f64_e32 v[56:57], v[106:107], v[130:131]
	v_fma_f64 v[32:33], v[32:33], -0.5, v[96:97]
	v_fma_f64 v[88:89], v[34:35], -0.5, v[88:89]
	;; [unrolled: 1-line block ×3, first 2 shown]
	v_add_f64_e64 v[128:129], v[128:129], -v[134:135]
	v_add_f64_e64 v[60:61], v[2:3], -v[8:9]
	;; [unrolled: 1-line block ×3, first 2 shown]
	v_add_f64_e32 v[184:185], v[84:85], v[4:5]
	v_fma_f64 v[94:95], v[42:43], -0.5, v[94:95]
	v_fma_f64 v[106:107], v[6:7], -0.5, v[106:107]
	;; [unrolled: 1-line block ×3, first 2 shown]
	v_add_f64_e64 v[186:187], v[4:5], -v[64:65]
	v_add_f64_e64 v[188:189], v[18:19], -v[44:45]
	v_fma_f64 v[102:103], v[46:47], -0.5, v[102:103]
	v_fma_f64 v[84:85], v[54:55], -0.5, v[84:85]
	v_add_co_u32 v112, vcc_lo, v211, v168
	v_add_f64_e32 v[182:183], v[86:87], v[22:23]
	v_add_f64_e32 v[138:139], v[104:105], v[16:17]
	s_wait_alu 0xfffd
	v_add_co_ci_u32_e32 v113, vcc_lo, v212, v169, vcc_lo
	v_add_f64_e64 v[96:97], v[22:23], -v[78:79]
	v_add_f64_e64 v[168:169], v[16:17], -v[74:75]
	v_fma_f64 v[104:105], v[38:39], -0.5, v[104:105]
	v_fma_f64 v[86:87], v[40:41], -0.5, v[86:87]
	v_add_f64_e32 v[4:5], v[58:59], v[8:9]
	v_add_f64_e32 v[8:9], v[0:1], v[20:21]
	;; [unrolled: 1-line block ×6, first 2 shown]
	s_wait_alu 0xfffe
	v_fma_f64 v[46:47], v[164:165], s[2:3], v[28:29]
	v_fma_f64 v[42:43], v[164:165], s[0:1], v[28:29]
	v_add_f64_e32 v[16:17], v[162:163], v[52:53]
	v_fma_f64 v[44:45], v[118:119], s[0:1], v[90:91]
	v_fma_f64 v[40:41], v[118:119], s[2:3], v[90:91]
	v_fma_f64 v[50:51], v[158:159], s[2:3], v[110:111]
	v_add_f64_e32 v[12:13], v[154:155], v[36:37]
	v_fma_f64 v[38:39], v[158:159], s[0:1], v[110:111]
	;; [unrolled: 4-line block ×3, first 2 shown]
	v_fma_f64 v[52:53], v[136:137], s[0:1], v[88:89]
	v_fma_f64 v[34:35], v[68:69], s[0:1], v[24:25]
	;; [unrolled: 1-line block ×3, first 2 shown]
	v_add_f64_e32 v[10:11], v[66:67], v[134:135]
	v_add_f64_e32 v[6:7], v[56:57], v[124:125]
	v_fma_f64 v[58:59], v[62:63], s[2:3], v[108:109]
	v_fma_f64 v[56:57], v[128:129], s[0:1], v[94:95]
	;; [unrolled: 1-line block ×8, first 2 shown]
	v_add_f64_e32 v[0:1], v[184:185], v[64:65]
	v_fma_f64 v[82:83], v[186:187], s[2:3], v[102:103]
	v_fma_f64 v[80:81], v[188:189], s[0:1], v[84:85]
	v_add_f64_e32 v[64:65], v[182:183], v[78:79]
	v_fma_f64 v[78:79], v[186:187], s[0:1], v[102:103]
	v_fma_f64 v[76:77], v[188:189], s[2:3], v[84:85]
	;; [unrolled: 3-line block ×3, first 2 shown]
	v_fma_f64 v[70:71], v[96:97], s[0:1], v[104:105]
	v_fma_f64 v[68:69], v[168:169], s[2:3], v[86:87]
	v_add_co_u32 v88, vcc_lo, v211, v170
	s_wait_alu 0xfffd
	v_add_co_ci_u32_e32 v89, vcc_lo, v212, v171, vcc_lo
	v_add_co_u32 v90, vcc_lo, v211, v172
	s_wait_alu 0xfffd
	v_add_co_ci_u32_e32 v91, vcc_lo, v212, v173, vcc_lo
	s_clause 0xf
	global_store_b128 v[140:141], v[20:23], off
	global_store_b128 v[142:143], v[44:47], off
	;; [unrolled: 1-line block ×16, first 2 shown]
	v_mad_co_u64_u32 v[0:1], null, s17, v213, v[180:181]
	v_mov_b32_e32 v180, v198
	v_add_co_u32 v92, vcc_lo, v211, v174
	v_lshlrev_b64_e32 v[1:2], 4, v[156:157]
	s_wait_alu 0xfffd
	v_add_co_ci_u32_e32 v93, vcc_lo, v212, v175, vcc_lo
	v_mov_b32_e32 v182, v0
	v_add_co_u32 v3, vcc_lo, v211, v176
	v_lshlrev_b64_e32 v[5:6], 4, v[179:180]
	s_wait_alu 0xfffd
	v_add_co_ci_u32_e32 v4, vcc_lo, v212, v177, vcc_lo
	v_add_co_u32 v0, vcc_lo, v211, v1
	v_lshlrev_b64_e32 v[7:8], 4, v[181:182]
	s_wait_alu 0xfffd
	v_add_co_ci_u32_e32 v1, vcc_lo, v212, v2, vcc_lo
	v_add_co_u32 v5, vcc_lo, v211, v5
	s_wait_alu 0xfffd
	v_add_co_ci_u32_e32 v6, vcc_lo, v212, v6, vcc_lo
	v_add_co_u32 v7, vcc_lo, v211, v7
	s_wait_alu 0xfffd
	v_add_co_ci_u32_e32 v8, vcc_lo, v212, v8, vcc_lo
	s_clause 0x4
	global_store_b128 v[92:93], v[80:83], off
	global_store_b128 v[3:4], v[76:79], off
	;; [unrolled: 1-line block ×5, first 2 shown]
.LBB0_37:
	s_nop 0
	s_sendmsg sendmsg(MSG_DEALLOC_VGPRS)
	s_endpgm
	.section	.rodata,"a",@progbits
	.p2align	6, 0x0
	.amdhsa_kernel fft_rtc_back_len1092_factors_2_2_13_7_3_wgs_52_tpt_52_halfLds_dp_op_CI_CI_sbrr_dirReg
		.amdhsa_group_segment_fixed_size 0
		.amdhsa_private_segment_fixed_size 12
		.amdhsa_kernarg_size 104
		.amdhsa_user_sgpr_count 2
		.amdhsa_user_sgpr_dispatch_ptr 0
		.amdhsa_user_sgpr_queue_ptr 0
		.amdhsa_user_sgpr_kernarg_segment_ptr 1
		.amdhsa_user_sgpr_dispatch_id 0
		.amdhsa_user_sgpr_private_segment_size 0
		.amdhsa_wavefront_size32 1
		.amdhsa_uses_dynamic_stack 0
		.amdhsa_enable_private_segment 1
		.amdhsa_system_sgpr_workgroup_id_x 1
		.amdhsa_system_sgpr_workgroup_id_y 0
		.amdhsa_system_sgpr_workgroup_id_z 0
		.amdhsa_system_sgpr_workgroup_info 0
		.amdhsa_system_vgpr_workitem_id 0
		.amdhsa_next_free_vgpr 256
		.amdhsa_next_free_sgpr 48
		.amdhsa_reserve_vcc 1
		.amdhsa_float_round_mode_32 0
		.amdhsa_float_round_mode_16_64 0
		.amdhsa_float_denorm_mode_32 3
		.amdhsa_float_denorm_mode_16_64 3
		.amdhsa_fp16_overflow 0
		.amdhsa_workgroup_processor_mode 1
		.amdhsa_memory_ordered 1
		.amdhsa_forward_progress 0
		.amdhsa_round_robin_scheduling 0
		.amdhsa_exception_fp_ieee_invalid_op 0
		.amdhsa_exception_fp_denorm_src 0
		.amdhsa_exception_fp_ieee_div_zero 0
		.amdhsa_exception_fp_ieee_overflow 0
		.amdhsa_exception_fp_ieee_underflow 0
		.amdhsa_exception_fp_ieee_inexact 0
		.amdhsa_exception_int_div_zero 0
	.end_amdhsa_kernel
	.text
.Lfunc_end0:
	.size	fft_rtc_back_len1092_factors_2_2_13_7_3_wgs_52_tpt_52_halfLds_dp_op_CI_CI_sbrr_dirReg, .Lfunc_end0-fft_rtc_back_len1092_factors_2_2_13_7_3_wgs_52_tpt_52_halfLds_dp_op_CI_CI_sbrr_dirReg
                                        ; -- End function
	.section	.AMDGPU.csdata,"",@progbits
; Kernel info:
; codeLenInByte = 18652
; NumSgprs: 50
; NumVgprs: 256
; ScratchSize: 12
; MemoryBound: 1
; FloatMode: 240
; IeeeMode: 1
; LDSByteSize: 0 bytes/workgroup (compile time only)
; SGPRBlocks: 6
; VGPRBlocks: 31
; NumSGPRsForWavesPerEU: 50
; NumVGPRsForWavesPerEU: 256
; Occupancy: 5
; WaveLimiterHint : 1
; COMPUTE_PGM_RSRC2:SCRATCH_EN: 1
; COMPUTE_PGM_RSRC2:USER_SGPR: 2
; COMPUTE_PGM_RSRC2:TRAP_HANDLER: 0
; COMPUTE_PGM_RSRC2:TGID_X_EN: 1
; COMPUTE_PGM_RSRC2:TGID_Y_EN: 0
; COMPUTE_PGM_RSRC2:TGID_Z_EN: 0
; COMPUTE_PGM_RSRC2:TIDIG_COMP_CNT: 0
	.text
	.p2alignl 7, 3214868480
	.fill 96, 4, 3214868480
	.type	__hip_cuid_f5b650c4dd6f6943,@object ; @__hip_cuid_f5b650c4dd6f6943
	.section	.bss,"aw",@nobits
	.globl	__hip_cuid_f5b650c4dd6f6943
__hip_cuid_f5b650c4dd6f6943:
	.byte	0                               ; 0x0
	.size	__hip_cuid_f5b650c4dd6f6943, 1

	.ident	"AMD clang version 19.0.0git (https://github.com/RadeonOpenCompute/llvm-project roc-6.4.0 25133 c7fe45cf4b819c5991fe208aaa96edf142730f1d)"
	.section	".note.GNU-stack","",@progbits
	.addrsig
	.addrsig_sym __hip_cuid_f5b650c4dd6f6943
	.amdgpu_metadata
---
amdhsa.kernels:
  - .args:
      - .actual_access:  read_only
        .address_space:  global
        .offset:         0
        .size:           8
        .value_kind:     global_buffer
      - .offset:         8
        .size:           8
        .value_kind:     by_value
      - .actual_access:  read_only
        .address_space:  global
        .offset:         16
        .size:           8
        .value_kind:     global_buffer
      - .actual_access:  read_only
        .address_space:  global
        .offset:         24
        .size:           8
        .value_kind:     global_buffer
      - .actual_access:  read_only
        .address_space:  global
        .offset:         32
        .size:           8
        .value_kind:     global_buffer
      - .offset:         40
        .size:           8
        .value_kind:     by_value
      - .actual_access:  read_only
        .address_space:  global
        .offset:         48
        .size:           8
        .value_kind:     global_buffer
      - .actual_access:  read_only
        .address_space:  global
        .offset:         56
        .size:           8
        .value_kind:     global_buffer
      - .offset:         64
        .size:           4
        .value_kind:     by_value
      - .actual_access:  read_only
        .address_space:  global
        .offset:         72
        .size:           8
        .value_kind:     global_buffer
      - .actual_access:  read_only
        .address_space:  global
        .offset:         80
        .size:           8
        .value_kind:     global_buffer
      - .actual_access:  read_only
        .address_space:  global
        .offset:         88
        .size:           8
        .value_kind:     global_buffer
      - .actual_access:  write_only
        .address_space:  global
        .offset:         96
        .size:           8
        .value_kind:     global_buffer
    .group_segment_fixed_size: 0
    .kernarg_segment_align: 8
    .kernarg_segment_size: 104
    .language:       OpenCL C
    .language_version:
      - 2
      - 0
    .max_flat_workgroup_size: 52
    .name:           fft_rtc_back_len1092_factors_2_2_13_7_3_wgs_52_tpt_52_halfLds_dp_op_CI_CI_sbrr_dirReg
    .private_segment_fixed_size: 12
    .sgpr_count:     50
    .sgpr_spill_count: 0
    .symbol:         fft_rtc_back_len1092_factors_2_2_13_7_3_wgs_52_tpt_52_halfLds_dp_op_CI_CI_sbrr_dirReg.kd
    .uniform_work_group_size: 1
    .uses_dynamic_stack: false
    .vgpr_count:     256
    .vgpr_spill_count: 2
    .wavefront_size: 32
    .workgroup_processor_mode: 1
amdhsa.target:   amdgcn-amd-amdhsa--gfx1201
amdhsa.version:
  - 1
  - 2
...

	.end_amdgpu_metadata
